;; amdgpu-corpus repo=ROCm/rocFFT kind=compiled arch=gfx950 opt=O3
	.text
	.amdgcn_target "amdgcn-amd-amdhsa--gfx950"
	.amdhsa_code_object_version 6
	.protected	bluestein_single_back_len528_dim1_dp_op_CI_CI ; -- Begin function bluestein_single_back_len528_dim1_dp_op_CI_CI
	.globl	bluestein_single_back_len528_dim1_dp_op_CI_CI
	.p2align	8
	.type	bluestein_single_back_len528_dim1_dp_op_CI_CI,@function
bluestein_single_back_len528_dim1_dp_op_CI_CI: ; @bluestein_single_back_len528_dim1_dp_op_CI_CI
; %bb.0:
	s_load_dwordx4 s[4:7], s[0:1], 0x28
	v_mul_u32_u24_e32 v1, 0x556, v0
	v_mov_b32_e32 v145, 0
	v_add_u32_sdwa v146, s2, v1 dst_sel:DWORD dst_unused:UNUSED_PAD src0_sel:DWORD src1_sel:WORD_1
	v_mov_b32_e32 v147, v145
	s_waitcnt lgkmcnt(0)
	v_cmp_gt_u64_e32 vcc, s[4:5], v[146:147]
	s_and_saveexec_b64 s[2:3], vcc
	s_cbranch_execz .LBB0_31
; %bb.1:
	s_load_dwordx4 s[8:11], s[0:1], 0x18
	s_load_dwordx2 s[2:3], s[0:1], 0x0
	v_mov_b32_e32 v2, s6
	v_mov_b32_e32 v3, s7
	;; [unrolled: 1-line block ×3, first 2 shown]
	s_waitcnt lgkmcnt(0)
	s_load_dwordx4 s[4:7], s[8:9], 0x0
	v_mul_lo_u16_sdwa v1, v1, v4 dst_sel:DWORD dst_unused:UNUSED_PAD src0_sel:WORD_1 src1_sel:DWORD
	v_sub_u16_e32 v144, v0, v1
	v_lshlrev_b32_e32 v140, 4, v144
	v_mov_b32_e32 v141, v145
	s_waitcnt lgkmcnt(0)
	v_mad_u64_u32 v[0:1], s[8:9], s6, v146, 0
	v_mov_b32_e32 v4, v1
	v_mad_u64_u32 v[4:5], s[6:7], s7, v146, v[4:5]
	v_mov_b32_e32 v1, v4
	v_mad_u64_u32 v[4:5], s[6:7], s4, v144, 0
	v_mov_b32_e32 v6, v5
	v_mad_u64_u32 v[6:7], s[6:7], s5, v144, v[6:7]
	s_mul_i32 s6, s5, 0x84
	s_mul_hi_u32 s7, s4, 0x84
	v_mov_b32_e32 v5, v6
	v_lshl_add_u64 v[0:1], v[0:1], 4, v[2:3]
	s_add_i32 s7, s7, s6
	s_mul_i32 s6, s4, 0x84
	v_lshl_add_u64 v[8:9], v[4:5], 4, v[0:1]
	v_lshl_add_u64 v[142:143], s[2:3], 0, v[140:141]
	s_lshl_b64 s[12:13], s[6:7], 4
	s_movk_i32 s6, 0x1000
	global_load_dwordx4 v[0:3], v140, s[2:3]
	v_lshl_add_u64 v[10:11], v[8:9], 0, s[12:13]
	v_add_co_u32_e32 v32, vcc, s6, v142
	s_mul_hi_u32 s6, s4, 0xfffffea4
	global_load_dwordx4 v[36:39], v[8:9], off
	global_load_dwordx4 v[40:43], v[10:11], off
	global_load_dwordx4 v[4:7], v140, s[2:3] offset:2112
	v_lshl_add_u64 v[12:13], v[10:11], 0, s[12:13]
	s_mulk_i32 s5, 0xfea4
	s_sub_i32 s6, s6, s4
	v_addc_co_u32_e32 v33, vcc, 0, v143, vcc
	v_lshl_add_u64 v[16:17], v[12:13], 0, s[12:13]
	s_add_i32 s15, s6, s5
	s_mul_i32 s14, s4, 0xfffffea4
	global_load_dwordx4 v[44:47], v[12:13], off
	global_load_dwordx4 v[48:51], v[16:17], off
	global_load_dwordx4 v[8:11], v[32:33], off offset:128
	v_lshl_add_u64 v[20:21], s[14:15], 4, v[16:17]
	global_load_dwordx4 v[12:15], v[32:33], off offset:2240
	v_lshl_add_u64 v[24:25], v[20:21], 0, s[12:13]
	global_load_dwordx4 v[52:55], v[20:21], off
	global_load_dwordx4 v[16:19], v140, s[2:3] offset:768
	global_load_dwordx4 v[56:59], v[24:25], off
	s_nop 0
	global_load_dwordx4 v[20:23], v140, s[2:3] offset:2880
	v_lshl_add_u64 v[28:29], v[24:25], 0, s[12:13]
	global_load_dwordx4 v[60:63], v[28:29], off
	global_load_dwordx4 v[24:27], v[32:33], off offset:896
	v_lshl_add_u64 v[34:35], v[28:29], 0, s[12:13]
	global_load_dwordx4 v[28:31], v[32:33], off offset:3008
	global_load_dwordx4 v[64:67], v[34:35], off
	s_load_dwordx2 s[8:9], s[0:1], 0x38
	s_load_dwordx4 s[4:7], s[10:11], 0x0
	v_cmp_gt_u16_e32 vcc, 36, v144
	s_waitcnt vmcnt(14)
	v_mul_f64 v[68:69], v[38:39], v[2:3]
	v_mul_f64 v[70:71], v[36:37], v[2:3]
	v_fmac_f64_e32 v[68:69], v[36:37], v[0:1]
	v_fma_f64 v[70:71], v[38:39], v[0:1], -v[70:71]
	s_waitcnt vmcnt(12)
	v_mul_f64 v[36:37], v[42:43], v[6:7]
	v_mul_f64 v[38:39], v[40:41], v[6:7]
	v_fmac_f64_e32 v[36:37], v[40:41], v[4:5]
	v_fma_f64 v[38:39], v[42:43], v[4:5], -v[38:39]
	ds_write_b128 v140, v[36:39] offset:2112
	ds_write_b128 v140, v[68:71]
	s_waitcnt vmcnt(9)
	v_mul_f64 v[40:41], v[46:47], v[10:11]
	v_mul_f64 v[42:43], v[44:45], v[10:11]
	s_waitcnt vmcnt(8)
	v_mul_f64 v[36:37], v[50:51], v[14:15]
	v_mul_f64 v[38:39], v[48:49], v[14:15]
	v_fmac_f64_e32 v[40:41], v[44:45], v[8:9]
	v_fma_f64 v[42:43], v[46:47], v[8:9], -v[42:43]
	v_fmac_f64_e32 v[36:37], v[48:49], v[12:13]
	v_fma_f64 v[38:39], v[50:51], v[12:13], -v[38:39]
	ds_write_b128 v140, v[40:43] offset:4224
	s_waitcnt vmcnt(6)
	v_mul_f64 v[40:41], v[54:55], v[18:19]
	v_mul_f64 v[42:43], v[52:53], v[18:19]
	ds_write_b128 v140, v[36:39] offset:6336
	s_waitcnt vmcnt(4)
	v_mul_f64 v[36:37], v[58:59], v[22:23]
	v_mul_f64 v[38:39], v[56:57], v[22:23]
	v_fmac_f64_e32 v[40:41], v[52:53], v[16:17]
	v_fma_f64 v[42:43], v[54:55], v[16:17], -v[42:43]
	v_fmac_f64_e32 v[36:37], v[56:57], v[20:21]
	v_fma_f64 v[38:39], v[58:59], v[20:21], -v[38:39]
	ds_write_b128 v140, v[40:43] offset:768
	s_waitcnt vmcnt(2)
	v_mul_f64 v[40:41], v[62:63], v[26:27]
	v_mul_f64 v[42:43], v[60:61], v[26:27]
	ds_write_b128 v140, v[36:39] offset:2880
	s_waitcnt vmcnt(0)
	v_mul_f64 v[36:37], v[66:67], v[30:31]
	v_mul_f64 v[38:39], v[64:65], v[30:31]
	v_fmac_f64_e32 v[40:41], v[60:61], v[24:25]
	v_fma_f64 v[42:43], v[62:63], v[24:25], -v[42:43]
	v_fmac_f64_e32 v[36:37], v[64:65], v[28:29]
	v_fma_f64 v[38:39], v[66:67], v[28:29], -v[38:39]
	ds_write_b128 v140, v[40:43] offset:4992
	ds_write_b128 v140, v[36:39] offset:7104
	s_and_saveexec_b64 s[10:11], vcc
	s_cbranch_execz .LBB0_3
; %bb.2:
	v_lshl_add_u64 v[46:47], s[14:15], 4, v[34:35]
	v_lshl_add_u64 v[50:51], v[46:47], 0, s[12:13]
	global_load_dwordx4 v[34:37], v[46:47], off
	global_load_dwordx4 v[38:41], v[142:143], off offset:1536
	global_load_dwordx4 v[42:45], v[142:143], off offset:3648
	v_lshl_add_u64 v[62:63], v[50:51], 0, s[12:13]
	global_load_dwordx4 v[46:49], v[50:51], off
	s_nop 0
	global_load_dwordx4 v[50:53], v[62:63], off
	global_load_dwordx4 v[54:57], v[32:33], off offset:1664
	global_load_dwordx4 v[58:61], v[32:33], off offset:3776
	v_lshl_add_u64 v[32:33], v[62:63], 0, s[12:13]
	global_load_dwordx4 v[62:65], v[32:33], off
	s_waitcnt vmcnt(6)
	v_mul_f64 v[32:33], v[36:37], v[40:41]
	v_mul_f64 v[40:41], v[34:35], v[40:41]
	v_fmac_f64_e32 v[32:33], v[34:35], v[38:39]
	v_fma_f64 v[34:35], v[36:37], v[38:39], -v[40:41]
	s_waitcnt vmcnt(4)
	v_mul_f64 v[36:37], v[48:49], v[44:45]
	v_mul_f64 v[38:39], v[46:47], v[44:45]
	v_fmac_f64_e32 v[36:37], v[46:47], v[42:43]
	v_fma_f64 v[38:39], v[48:49], v[42:43], -v[38:39]
	ds_write_b128 v140, v[32:35] offset:1536
	s_waitcnt vmcnt(2)
	v_mul_f64 v[32:33], v[52:53], v[56:57]
	v_mul_f64 v[34:35], v[50:51], v[56:57]
	ds_write_b128 v140, v[36:39] offset:3648
	s_waitcnt vmcnt(0)
	v_mul_f64 v[36:37], v[64:65], v[60:61]
	v_mul_f64 v[38:39], v[62:63], v[60:61]
	v_fmac_f64_e32 v[32:33], v[50:51], v[54:55]
	v_fma_f64 v[34:35], v[52:53], v[54:55], -v[34:35]
	v_fmac_f64_e32 v[36:37], v[62:63], v[58:59]
	v_fma_f64 v[38:39], v[64:65], v[58:59], -v[38:39]
	ds_write_b128 v140, v[32:35] offset:5760
	ds_write_b128 v140, v[36:39] offset:7872
.LBB0_3:
	s_or_b64 exec, exec, s[10:11]
	s_waitcnt lgkmcnt(0)
	; wave barrier
	s_waitcnt lgkmcnt(0)
	ds_read_b128 v[64:67], v140
	ds_read_b128 v[44:47], v140 offset:768
	ds_read_b128 v[68:71], v140 offset:2112
	;; [unrolled: 1-line block ×7, first 2 shown]
                                        ; implicit-def: $vgpr32_vgpr33
                                        ; implicit-def: $vgpr60_vgpr61
                                        ; implicit-def: $vgpr52_vgpr53
                                        ; implicit-def: $vgpr36_vgpr37
	s_and_saveexec_b64 s[10:11], vcc
	s_cbranch_execz .LBB0_5
; %bb.4:
	ds_read_b128 v[32:35], v140 offset:1536
	ds_read_b128 v[36:39], v140 offset:3648
	;; [unrolled: 1-line block ×4, first 2 shown]
.LBB0_5:
	s_or_b64 exec, exec, s[10:11]
	s_waitcnt lgkmcnt(3)
	v_add_f64 v[80:81], v[64:65], -v[76:77]
	v_add_f64 v[82:83], v[66:67], -v[78:79]
	s_waitcnt lgkmcnt(1)
	v_add_f64 v[78:79], v[68:69], -v[72:73]
	v_add_f64 v[76:77], v[70:71], -v[74:75]
	v_fma_f64 v[64:65], v[64:65], 2.0, -v[80:81]
	v_fma_f64 v[66:67], v[66:67], 2.0, -v[82:83]
	;; [unrolled: 1-line block ×4, first 2 shown]
	v_add_f64 v[68:69], v[64:65], -v[68:69]
	v_add_f64 v[70:71], v[66:67], -v[70:71]
	v_fma_f64 v[72:73], v[64:65], 2.0, -v[68:69]
	v_fma_f64 v[74:75], v[66:67], 2.0, -v[70:71]
	v_add_f64 v[56:57], v[44:45], -v[56:57]
	v_add_f64 v[58:59], v[46:47], -v[58:59]
	s_waitcnt lgkmcnt(0)
	v_add_f64 v[64:65], v[40:41], -v[48:49]
	v_add_f64 v[66:67], v[42:43], -v[50:51]
	s_load_dwordx2 s[10:11], s[0:1], 0x8
	v_add_f64 v[84:85], v[56:57], -v[66:67]
	v_add_f64 v[86:87], v[58:59], v[64:65]
	v_fma_f64 v[44:45], v[44:45], 2.0, -v[56:57]
	v_fma_f64 v[46:47], v[46:47], 2.0, -v[58:59]
	;; [unrolled: 1-line block ×4, first 2 shown]
	v_add_f64 v[52:53], v[32:33], -v[52:53]
	v_add_f64 v[54:55], v[34:35], -v[54:55]
	;; [unrolled: 1-line block ×4, first 2 shown]
	s_mov_b64 s[0:1], 0x60
	v_fma_f64 v[40:41], v[40:41], 2.0, -v[64:65]
	v_fma_f64 v[42:43], v[42:43], 2.0, -v[66:67]
	v_fma_f64 v[32:33], v[32:33], 2.0, -v[52:53]
	v_fma_f64 v[34:35], v[34:35], 2.0, -v[54:55]
	v_fma_f64 v[36:37], v[36:37], 2.0, -v[56:57]
	v_fma_f64 v[38:39], v[38:39], 2.0, -v[58:59]
	v_lshl_add_u64 v[102:103], v[144:145], 0, 48
	v_lshl_add_u64 v[100:101], v[144:145], 0, s[0:1]
	v_add_f64 v[40:41], v[44:45], -v[40:41]
	v_add_f64 v[42:43], v[46:47], -v[42:43]
	;; [unrolled: 1-line block ×5, first 2 shown]
	v_add_f64 v[66:67], v[54:55], v[56:57]
	v_add_f64 v[76:77], v[80:81], -v[76:77]
	v_add_f64 v[78:79], v[82:83], v[78:79]
	v_fma_f64 v[48:49], v[44:45], 2.0, -v[40:41]
	v_fma_f64 v[50:51], v[46:47], 2.0, -v[42:43]
	;; [unrolled: 1-line block ×6, first 2 shown]
	v_lshlrev_b32_e32 v93, 2, v144
	v_lshlrev_b32_e32 v149, 6, v144
	v_lshlrev_b32_e32 v92, 2, v102
	v_lshlrev_b32_e32 v150, 6, v102
	v_lshlrev_b32_e32 v148, 6, v100
	v_fma_f64 v[80:81], v[80:81], 2.0, -v[76:77]
	v_fma_f64 v[82:83], v[82:83], 2.0, -v[78:79]
	s_waitcnt lgkmcnt(0)
	; wave barrier
	s_waitcnt lgkmcnt(0)
	ds_write_b128 v149, v[72:75]
	ds_write_b128 v149, v[80:83] offset:16
	ds_write_b128 v149, v[68:71] offset:32
	;; [unrolled: 1-line block ×3, first 2 shown]
	ds_write_b128 v150, v[48:51]
	ds_write_b128 v150, v[88:91] offset:16
	ds_write_b128 v150, v[40:43] offset:32
	;; [unrolled: 1-line block ×3, first 2 shown]
	s_and_saveexec_b64 s[0:1], vcc
	s_cbranch_execz .LBB0_7
; %bb.6:
	ds_write_b128 v148, v[44:47]
	ds_write_b128 v148, v[56:59] offset:16
	ds_write_b128 v148, v[60:63] offset:32
	;; [unrolled: 1-line block ×3, first 2 shown]
.LBB0_7:
	s_or_b64 exec, exec, s[0:1]
	s_waitcnt lgkmcnt(0)
	; wave barrier
	s_waitcnt lgkmcnt(0)
	ds_read_b128 v[52:55], v140
	ds_read_b128 v[48:51], v140 offset:768
	ds_read_b128 v[80:83], v140 offset:2112
	;; [unrolled: 1-line block ×7, first 2 shown]
	s_and_saveexec_b64 s[0:1], vcc
	s_cbranch_execz .LBB0_9
; %bb.8:
	ds_read_b128 v[44:47], v140 offset:1536
	ds_read_b128 v[56:59], v140 offset:3648
	;; [unrolled: 1-line block ×4, first 2 shown]
.LBB0_9:
	s_or_b64 exec, exec, s[0:1]
	v_and_b32_e32 v141, 3, v144
	v_mad_u64_u32 v[94:95], s[0:1], v141, 48, s[10:11]
	global_load_dwordx4 v[40:43], v[94:95], off
	global_load_dwordx4 v[36:39], v[94:95], off offset:16
	global_load_dwordx4 v[32:35], v[94:95], off offset:32
	s_movk_i32 s0, 0xf0
	v_and_or_b32 v93, v93, s0, v141
	v_lshlrev_b32_e32 v151, 4, v93
	s_movk_i32 s0, 0x1f0
	s_waitcnt lgkmcnt(0)
	; wave barrier
	s_waitcnt lgkmcnt(0)
	v_lshlrev_b32_e32 v153, 2, v100
	s_waitcnt vmcnt(2)
	v_mul_f64 v[94:95], v[82:83], v[42:43]
	v_mul_f64 v[96:97], v[80:81], v[42:43]
	s_waitcnt vmcnt(1)
	v_mul_f64 v[98:99], v[86:87], v[38:39]
	v_mul_f64 v[104:105], v[84:85], v[38:39]
	;; [unrolled: 3-line block ×3, first 2 shown]
	v_mul_f64 v[110:111], v[70:71], v[42:43]
	v_mul_f64 v[112:113], v[68:69], v[42:43]
	;; [unrolled: 1-line block ×12, first 2 shown]
	v_fma_f64 v[80:81], v[80:81], v[40:41], -v[94:95]
	v_fmac_f64_e32 v[96:97], v[82:83], v[40:41]
	v_fma_f64 v[82:83], v[84:85], v[36:37], -v[98:99]
	v_fmac_f64_e32 v[104:105], v[86:87], v[36:37]
	;; [unrolled: 2-line block ×9, first 2 shown]
	v_add_f64 v[64:65], v[52:53], -v[82:83]
	v_add_f64 v[66:67], v[54:55], -v[104:105]
	;; [unrolled: 1-line block ×10, first 2 shown]
	v_fma_f64 v[90:91], v[52:53], 2.0, -v[64:65]
	v_fma_f64 v[94:95], v[54:55], 2.0, -v[66:67]
	;; [unrolled: 1-line block ×4, first 2 shown]
	v_add_f64 v[88:89], v[46:47], -v[128:129]
	v_add_f64 v[76:77], v[74:75], -v[58:59]
	;; [unrolled: 1-line block ×3, first 2 shown]
	v_add_f64 v[58:59], v[66:67], v[60:61]
	v_fma_f64 v[96:97], v[48:49], 2.0, -v[82:83]
	v_fma_f64 v[98:99], v[50:51], 2.0, -v[84:85]
	;; [unrolled: 1-line block ×3, first 2 shown]
	v_add_f64 v[48:49], v[82:83], -v[72:73]
	v_add_f64 v[50:51], v[84:85], v[70:71]
	v_add_f64 v[68:69], v[86:87], -v[78:79]
	v_add_f64 v[60:61], v[90:91], -v[52:53]
	;; [unrolled: 1-line block ×3, first 2 shown]
	v_fma_f64 v[104:105], v[112:113], 2.0, -v[72:73]
	v_fma_f64 v[44:45], v[44:45], 2.0, -v[86:87]
	;; [unrolled: 1-line block ×3, first 2 shown]
	v_add_f64 v[70:71], v[88:89], v[76:77]
	v_add_f64 v[76:77], v[96:97], -v[80:81]
	v_fma_f64 v[80:81], v[82:83], 2.0, -v[48:49]
	v_fma_f64 v[82:83], v[84:85], 2.0, -v[50:51]
	v_fma_f64 v[52:53], v[86:87], 2.0, -v[68:69]
	v_fma_f64 v[84:85], v[90:91], 2.0, -v[60:61]
	v_fma_f64 v[86:87], v[94:95], 2.0, -v[62:63]
	v_fma_f64 v[46:47], v[46:47], 2.0, -v[88:89]
	v_fma_f64 v[74:75], v[124:125], 2.0, -v[78:79]
	v_fma_f64 v[64:65], v[64:65], 2.0, -v[56:57]
	v_fma_f64 v[66:67], v[66:67], 2.0, -v[58:59]
	v_add_f64 v[78:79], v[98:99], -v[104:105]
	ds_write_b128 v151, v[84:87]
	ds_write_b128 v151, v[64:67] offset:64
	ds_write_b128 v151, v[60:63] offset:128
	;; [unrolled: 1-line block ×3, first 2 shown]
	v_and_or_b32 v56, v92, s0, v141
	v_add_f64 v[72:73], v[44:45], -v[72:73]
	v_add_f64 v[74:75], v[46:47], -v[74:75]
	v_fma_f64 v[54:55], v[88:89], 2.0, -v[70:71]
	v_fma_f64 v[88:89], v[96:97], 2.0, -v[76:77]
	;; [unrolled: 1-line block ×3, first 2 shown]
	v_lshlrev_b32_e32 v152, 4, v56
	ds_write_b128 v152, v[88:91]
	ds_write_b128 v152, v[80:83] offset:64
	ds_write_b128 v152, v[76:79] offset:128
	;; [unrolled: 1-line block ×3, first 2 shown]
	s_and_saveexec_b64 s[0:1], vcc
	s_cbranch_execz .LBB0_11
; %bb.10:
	s_movk_i32 s12, 0x3f0
	v_and_or_b32 v48, v153, s12, v141
	v_fma_f64 v[46:47], v[46:47], 2.0, -v[74:75]
	v_fma_f64 v[44:45], v[44:45], 2.0, -v[72:73]
	v_lshlrev_b32_e32 v48, 4, v48
	ds_write_b128 v48, v[44:47]
	ds_write_b128 v48, v[52:55] offset:64
	ds_write_b128 v48, v[72:75] offset:128
	;; [unrolled: 1-line block ×3, first 2 shown]
.LBB0_11:
	s_or_b64 exec, exec, s[0:1]
	s_waitcnt lgkmcnt(0)
	; wave barrier
	s_waitcnt lgkmcnt(0)
	ds_read_b128 v[64:67], v140
	ds_read_b128 v[60:63], v140 offset:768
	ds_read_b128 v[84:87], v140 offset:5632
	ds_read_b128 v[76:79], v140 offset:6400
	ds_read_b128 v[96:99], v140 offset:2816
	ds_read_b128 v[56:59], v140 offset:1536
	ds_read_b128 v[92:95], v140 offset:3584
	ds_read_b128 v[88:91], v140 offset:4352
	ds_read_b128 v[80:83], v140 offset:7168
	v_cmp_gt_u16_e64 s[0:1], 32, v144
	s_and_saveexec_b64 s[12:13], s[0:1]
	s_cbranch_execz .LBB0_13
; %bb.12:
	ds_read_b128 v[52:55], v140 offset:2304
	ds_read_b128 v[72:75], v140 offset:5120
	;; [unrolled: 1-line block ×3, first 2 shown]
.LBB0_13:
	s_or_b64 exec, exec, s[12:13]
	v_and_b32_e32 v147, 15, v144
	v_lshlrev_b32_e32 v101, 5, v147
	global_load_dwordx4 v[48:51], v101, s[10:11] offset:192
	global_load_dwordx4 v[44:47], v101, s[10:11] offset:208
	v_lshrrev_b32_e32 v103, 4, v144
	s_mov_b32 s12, 0xe8584caa
	v_mul_u32_u24_e32 v103, 48, v103
	s_mov_b32 s13, 0x3febb67a
	s_mov_b32 s15, 0xbfebb67a
	;; [unrolled: 1-line block ×3, first 2 shown]
	v_or_b32_e32 v103, v103, v147
	v_lshlrev_b32_e32 v154, 4, v103
	s_waitcnt lgkmcnt(0)
	; wave barrier
	s_waitcnt lgkmcnt(0)
	s_mov_b64 s[16:17], 0x90
	v_lshl_add_u64 v[116:117], v[144:145], 0, s[16:17]
	v_mov_b32_e32 v101, 0
	v_lshrrev_b32_e32 v145, 4, v116
	s_waitcnt vmcnt(1)
	v_mul_f64 v[108:109], v[98:99], v[50:51]
	s_waitcnt vmcnt(0)
	v_mul_f64 v[112:113], v[86:87], v[46:47]
	v_mul_f64 v[110:111], v[96:97], v[50:51]
	;; [unrolled: 1-line block ×5, first 2 shown]
	v_fma_f64 v[96:97], v[96:97], v[48:49], -v[108:109]
	v_fma_f64 v[84:85], v[84:85], v[44:45], -v[112:113]
	v_mul_f64 v[120:121], v[92:93], v[50:51]
	v_mul_f64 v[122:123], v[78:79], v[46:47]
	;; [unrolled: 1-line block ×6, first 2 shown]
	v_fmac_f64_e32 v[110:111], v[98:99], v[48:49]
	v_fmac_f64_e32 v[114:115], v[86:87], v[44:45]
	v_fma_f64 v[86:87], v[92:93], v[48:49], -v[118:119]
	v_fmac_f64_e32 v[104:105], v[74:75], v[48:49]
	v_add_f64 v[74:75], v[96:97], v[84:85]
	v_mul_f64 v[124:125], v[76:77], v[46:47]
	v_mul_f64 v[126:127], v[90:91], v[50:51]
	v_mul_f64 v[130:131], v[82:83], v[46:47]
	v_mul_f64 v[136:137], v[70:71], v[46:47]
	v_fmac_f64_e32 v[120:121], v[94:95], v[48:49]
	v_fma_f64 v[76:77], v[76:77], v[44:45], -v[122:123]
	v_fmac_f64_e32 v[128:129], v[90:91], v[48:49]
	v_fmac_f64_e32 v[132:133], v[82:83], v[44:45]
	;; [unrolled: 1-line block ×3, first 2 shown]
	v_add_f64 v[70:71], v[64:65], v[96:97]
	v_add_f64 v[92:93], v[110:111], -v[114:115]
	v_add_f64 v[82:83], v[66:67], v[110:111]
	v_add_f64 v[90:91], v[110:111], v[114:115]
	v_add_f64 v[94:95], v[96:97], -v[84:85]
	v_add_f64 v[96:97], v[60:61], v[86:87]
	v_fmac_f64_e32 v[64:65], -0.5, v[74:75]
	v_fmac_f64_e32 v[124:125], v[78:79], v[44:45]
	v_fma_f64 v[78:79], v[88:89], v[48:49], -v[126:127]
	v_fma_f64 v[88:89], v[80:81], v[44:45], -v[130:131]
	v_add_f64 v[98:99], v[86:87], v[76:77]
	v_add_f64 v[80:81], v[70:71], v[84:85]
	v_add_f64 v[82:83], v[82:83], v[114:115]
	v_fmac_f64_e32 v[66:67], -0.5, v[90:91]
	v_add_f64 v[84:85], v[96:97], v[76:77]
	v_fma_f64 v[96:97], s[12:13], v[92:93], v[64:65]
	v_fmac_f64_e32 v[64:65], s[14:15], v[92:93]
	v_fmac_f64_e32 v[60:61], -0.5, v[98:99]
	v_fma_f64 v[98:99], s[14:15], v[94:95], v[66:67]
	v_fmac_f64_e32 v[66:67], s[12:13], v[94:95]
	ds_write_b128 v154, v[80:83]
	ds_write_b128 v154, v[96:99] offset:256
	ds_write_b128 v154, v[64:67] offset:512
	v_lshrrev_b32_e32 v64, 4, v102
	v_mul_u32_u24_e32 v64, 48, v64
	v_add_f64 v[110:111], v[120:121], -v[124:125]
	v_add_f64 v[108:109], v[62:63], v[120:121]
	v_add_f64 v[112:113], v[120:121], v[124:125]
	v_or_b32_e32 v64, v64, v147
	v_add_f64 v[118:119], v[86:87], -v[76:77]
	v_add_f64 v[86:87], v[108:109], v[124:125]
	v_fmac_f64_e32 v[62:63], -0.5, v[112:113]
	v_fma_f64 v[108:109], s[12:13], v[110:111], v[60:61]
	v_fmac_f64_e32 v[60:61], s[14:15], v[110:111]
	v_lshlrev_b32_e32 v155, 4, v64
	v_fma_f64 v[72:73], v[72:73], v[48:49], -v[134:135]
	v_fma_f64 v[68:69], v[68:69], v[44:45], -v[136:137]
	v_add_f64 v[126:127], v[128:129], -v[132:133]
	v_add_f64 v[130:131], v[58:59], v[128:129]
	v_add_f64 v[128:129], v[128:129], v[132:133]
	v_fma_f64 v[110:111], s[14:15], v[118:119], v[62:63]
	v_fmac_f64_e32 v[62:63], s[12:13], v[118:119]
	ds_write_b128 v155, v[84:87]
	ds_write_b128 v155, v[108:111] offset:256
	ds_write_b128 v155, v[60:63] offset:512
	v_lshrrev_b32_e32 v60, 4, v100
	v_add_f64 v[120:121], v[56:57], v[78:79]
	v_add_f64 v[122:123], v[78:79], v[88:89]
	v_add_f64 v[78:79], v[78:79], -v[88:89]
	v_add_f64 v[134:135], v[72:73], v[68:69]
	v_fmac_f64_e32 v[58:59], -0.5, v[128:129]
	v_add_f64 v[76:77], v[104:105], v[106:107]
	v_mul_u32_u24_e32 v60, 48, v60
	v_fma_f64 v[114:115], s[14:15], v[78:79], v[58:59]
	v_fmac_f64_e32 v[58:59], s[12:13], v[78:79]
	v_fma_f64 v[70:71], -0.5, v[134:135], v[52:53]
	v_add_f64 v[74:75], v[104:105], -v[106:107]
	v_fma_f64 v[76:77], -0.5, v[76:77], v[54:55]
	v_add_f64 v[78:79], v[72:73], -v[68:69]
	v_or_b32_e32 v60, v60, v147
	v_add_f64 v[88:89], v[120:121], v[88:89]
	v_fmac_f64_e32 v[56:57], -0.5, v[122:123]
	v_add_f64 v[90:91], v[130:131], v[132:133]
	v_fma_f64 v[92:93], s[14:15], v[74:75], v[70:71]
	v_fma_f64 v[94:95], s[12:13], v[78:79], v[76:77]
	v_lshlrev_b32_e32 v156, 4, v60
	v_fma_f64 v[112:113], s[12:13], v[126:127], v[56:57]
	v_fmac_f64_e32 v[56:57], s[14:15], v[126:127]
	ds_write_b128 v156, v[88:91]
	ds_write_b128 v156, v[112:115] offset:256
	ds_write_b128 v156, v[56:59] offset:512
	s_and_saveexec_b64 s[14:15], s[0:1]
	s_cbranch_execz .LBB0_15
; %bb.14:
	v_mul_f64 v[58:59], v[74:75], s[12:13]
	v_add_f64 v[54:55], v[54:55], v[104:105]
	v_add_f64 v[52:53], v[52:53], v[72:73]
	;; [unrolled: 1-line block ×5, first 2 shown]
	v_mul_u32_u24_e32 v52, 48, v145
	v_or_b32_e32 v52, v52, v147
	v_mul_f64 v[56:57], v[78:79], s[12:13]
	v_lshlrev_b32_e32 v52, 4, v52
	v_add_f64 v[56:57], v[76:77], -v[56:57]
	ds_write_b128 v52, v[58:61]
	ds_write_b128 v52, v[54:57] offset:256
	ds_write_b128 v52, v[92:95] offset:512
.LBB0_15:
	s_or_b64 exec, exec, s[14:15]
	s_movk_i32 s12, 0xa0
	v_mov_b64_e32 v[52:53], s[10:11]
	v_mad_u64_u32 v[96:97], s[10:11], v144, s12, v[52:53]
	s_waitcnt lgkmcnt(0)
	; wave barrier
	s_waitcnt lgkmcnt(0)
	global_load_dwordx4 v[64:67], v[96:97], off offset:704
	global_load_dwordx4 v[60:63], v[96:97], off offset:720
	;; [unrolled: 1-line block ×10, first 2 shown]
	ds_read_b128 v[122:125], v140
	ds_read_b128 v[108:111], v140 offset:768
	ds_read_b128 v[114:117], v140 offset:1536
	;; [unrolled: 1-line block ×10, first 2 shown]
	v_lshlrev_b32_e32 v100, 4, v144
	v_lshl_add_u64 v[112:113], s[2:3], 0, v[100:101]
	s_mov_b32 s22, 0xf8bb580b
	s_mov_b32 s14, 0x43842ef
	;; [unrolled: 1-line block ×26, first 2 shown]
	s_waitcnt vmcnt(9) lgkmcnt(9)
	v_mul_f64 v[100:101], v[110:111], v[66:67]
	v_mul_f64 v[138:139], v[108:109], v[66:67]
	s_waitcnt vmcnt(8) lgkmcnt(8)
	v_mul_f64 v[102:103], v[116:117], v[62:63]
	v_mul_f64 v[178:179], v[114:115], v[62:63]
	s_waitcnt vmcnt(6) lgkmcnt(6)
	v_mul_f64 v[104:105], v[130:131], v[54:55]
	s_waitcnt vmcnt(5) lgkmcnt(5)
	v_mul_f64 v[184:185], v[136:137], v[82:83]
	v_fma_f64 v[108:109], v[108:109], v[64:65], -v[100:101]
	v_fmac_f64_e32 v[138:139], v[110:111], v[64:65]
	v_mul_f64 v[180:181], v[128:129], v[58:59]
	s_waitcnt vmcnt(0) lgkmcnt(0)
	v_mul_f64 v[196:197], v[176:177], v[86:87]
	v_mul_f64 v[118:119], v[126:127], v[58:59]
	;; [unrolled: 1-line block ×5, first 2 shown]
	v_fma_f64 v[200:201], v[114:115], v[60:61], -v[102:103]
	v_fmac_f64_e32 v[178:179], v[116:117], v[60:61]
	v_fmac_f64_e32 v[104:105], v[132:133], v[52:53]
	v_fma_f64 v[100:101], v[134:135], v[80:81], -v[184:185]
	v_fma_f64 v[110:111], v[174:175], v[84:85], -v[196:197]
	v_add_f64 v[132:133], v[122:123], v[108:109]
	v_add_f64 v[134:135], v[124:125], v[138:139]
	v_mul_f64 v[186:187], v[160:161], v[78:79]
	v_fma_f64 v[126:127], v[126:127], v[56:57], -v[180:181]
	v_fmac_f64_e32 v[118:119], v[128:129], v[56:57]
	v_fmac_f64_e32 v[96:97], v[136:137], v[80:81]
	;; [unrolled: 1-line block ×3, first 2 shown]
	v_add_f64 v[136:137], v[108:109], v[110:111]
	v_add_f64 v[160:161], v[108:109], -v[110:111]
	v_add_f64 v[108:109], v[132:133], v[200:201]
	v_add_f64 v[132:133], v[134:135], v[178:179]
	v_fma_f64 v[114:115], v[130:131], v[52:53], -v[182:183]
	v_add_f64 v[108:109], v[108:109], v[126:127]
	v_add_f64 v[132:133], v[132:133], v[118:119]
	;; [unrolled: 1-line block ×4, first 2 shown]
	v_mul_f64 v[188:189], v[164:165], v[74:75]
	v_mul_f64 v[106:107], v[162:163], v[74:75]
	v_fma_f64 v[102:103], v[158:159], v[76:77], -v[186:187]
	v_add_f64 v[108:109], v[108:109], v[100:101]
	v_add_f64 v[132:133], v[132:133], v[96:97]
	v_mul_f64 v[190:191], v[168:169], v[70:71]
	v_mul_f64 v[120:121], v[166:167], v[70:71]
	v_fma_f64 v[116:117], v[162:163], v[72:73], -v[188:189]
	v_fmac_f64_e32 v[106:107], v[164:165], v[72:73]
	v_add_f64 v[108:109], v[108:109], v[102:103]
	v_add_f64 v[132:133], v[132:133], v[98:99]
	v_mul_f64 v[192:193], v[172:173], v[90:91]
	v_mul_f64 v[194:195], v[170:171], v[90:91]
	v_mul_f64 v[198:199], v[174:175], v[86:87]
	v_fma_f64 v[128:129], v[166:167], v[68:69], -v[190:191]
	v_fmac_f64_e32 v[120:121], v[168:169], v[68:69]
	v_add_f64 v[108:109], v[108:109], v[116:117]
	v_add_f64 v[132:133], v[132:133], v[106:107]
	v_fma_f64 v[130:131], v[170:171], v[88:89], -v[192:193]
	v_fmac_f64_e32 v[194:195], v[172:173], v[88:89]
	v_fmac_f64_e32 v[198:199], v[176:177], v[84:85]
	v_add_f64 v[108:109], v[108:109], v[128:129]
	v_add_f64 v[132:133], v[132:133], v[120:121]
	;; [unrolled: 1-line block ×3, first 2 shown]
	v_add_f64 v[138:139], v[138:139], -v[198:199]
	v_add_f64 v[108:109], v[108:109], v[130:131]
	v_add_f64 v[132:133], v[132:133], v[194:195]
	v_add_f64 v[108:109], v[108:109], v[110:111]
	v_add_f64 v[110:111], v[132:133], v[198:199]
	v_mul_f64 v[132:133], v[138:139], s[22:23]
	v_mul_f64 v[162:163], v[160:161], s[22:23]
	;; [unrolled: 1-line block ×10, first 2 shown]
	v_fma_f64 v[134:135], v[136:137], s[16:17], -v[132:133]
	v_fma_f64 v[164:165], s[16:17], v[158:159], v[162:163]
	v_fmac_f64_e32 v[132:133], s[16:17], v[136:137]
	v_fma_f64 v[162:163], v[158:159], s[16:17], -v[162:163]
	v_fma_f64 v[168:169], v[136:137], s[2:3], -v[166:167]
	v_fma_f64 v[172:173], s[2:3], v[158:159], v[170:171]
	v_fmac_f64_e32 v[166:167], s[2:3], v[136:137]
	v_fma_f64 v[170:171], v[158:159], s[2:3], -v[170:171]
	;; [unrolled: 4-line block ×5, first 2 shown]
	v_add_f64 v[158:159], v[178:179], -v[194:195]
	v_add_f64 v[164:165], v[124:125], v[164:165]
	v_add_f64 v[162:163], v[124:125], v[162:163]
	;; [unrolled: 1-line block ×11, first 2 shown]
	v_mul_f64 v[160:161], v[158:159], s[12:13]
	v_add_f64 v[134:135], v[122:123], v[134:135]
	v_add_f64 v[132:133], v[122:123], v[132:133]
	;; [unrolled: 1-line block ×11, first 2 shown]
	v_add_f64 v[130:131], v[200:201], -v[130:131]
	v_fma_f64 v[178:179], v[136:137], s[2:3], -v[160:161]
	v_add_f64 v[134:135], v[178:179], v[134:135]
	v_mul_f64 v[178:179], v[130:131], s[12:13]
	v_fmac_f64_e32 v[160:161], s[2:3], v[136:137]
	v_add_f64 v[132:133], v[160:161], v[132:133]
	v_fma_f64 v[160:161], v[138:139], s[2:3], -v[178:179]
	v_add_f64 v[160:161], v[160:161], v[162:163]
	v_mul_f64 v[162:163], v[158:159], s[20:21]
	v_fma_f64 v[194:195], s[2:3], v[138:139], v[178:179]
	v_fma_f64 v[178:179], v[136:137], s[18:19], -v[162:163]
	v_add_f64 v[168:169], v[178:179], v[168:169]
	v_mul_f64 v[178:179], v[130:131], s[20:21]
	v_fmac_f64_e32 v[162:163], s[18:19], v[136:137]
	v_add_f64 v[162:163], v[162:163], v[166:167]
	v_fma_f64 v[166:167], v[138:139], s[18:19], -v[178:179]
	v_add_f64 v[166:167], v[166:167], v[170:171]
	v_mul_f64 v[170:171], v[158:159], s[34:35]
	v_add_f64 v[164:165], v[194:195], v[164:165]
	v_fma_f64 v[194:195], s[18:19], v[138:139], v[178:179]
	v_fma_f64 v[178:179], v[136:137], s[24:25], -v[170:171]
	v_add_f64 v[176:177], v[178:179], v[176:177]
	v_mul_f64 v[178:179], v[130:131], s[34:35]
	v_fmac_f64_e32 v[170:171], s[24:25], v[136:137]
	v_add_f64 v[172:173], v[194:195], v[172:173]
	v_fma_f64 v[194:195], s[24:25], v[138:139], v[178:179]
	v_add_f64 v[170:171], v[170:171], v[174:175]
	v_fma_f64 v[174:175], v[138:139], s[24:25], -v[178:179]
	v_mul_f64 v[178:179], v[158:159], s[30:31]
	v_add_f64 v[174:175], v[174:175], v[180:181]
	v_fma_f64 v[180:181], v[136:137], s[10:11], -v[178:179]
	v_add_f64 v[180:181], v[180:181], v[186:187]
	v_mul_f64 v[186:187], v[130:131], s[30:31]
	v_fmac_f64_e32 v[178:179], s[10:11], v[136:137]
	v_add_f64 v[178:179], v[178:179], v[184:185]
	v_fma_f64 v[184:185], v[138:139], s[10:11], -v[186:187]
	v_mul_f64 v[158:159], v[158:159], s[28:29]
	v_mul_f64 v[130:131], v[130:131], s[28:29]
	v_add_f64 v[182:183], v[194:195], v[182:183]
	v_fma_f64 v[194:195], s[10:11], v[138:139], v[186:187]
	v_add_f64 v[184:185], v[184:185], v[188:189]
	v_fma_f64 v[186:187], v[136:137], s[16:17], -v[158:159]
	v_fma_f64 v[188:189], s[16:17], v[138:139], v[130:131]
	v_fmac_f64_e32 v[158:159], s[16:17], v[136:137]
	v_fma_f64 v[130:131], v[138:139], s[16:17], -v[130:131]
	v_add_f64 v[136:137], v[118:119], v[120:121]
	v_add_f64 v[118:119], v[118:119], -v[120:121]
	v_add_f64 v[124:125], v[130:131], v[124:125]
	v_add_f64 v[130:131], v[126:127], v[128:129]
	v_mul_f64 v[120:121], v[118:119], s[14:15]
	v_add_f64 v[126:127], v[126:127], -v[128:129]
	v_fma_f64 v[128:129], v[130:131], s[10:11], -v[120:121]
	v_add_f64 v[128:129], v[128:129], v[134:135]
	v_mul_f64 v[134:135], v[126:127], s[14:15]
	v_fmac_f64_e32 v[120:121], s[10:11], v[130:131]
	v_fma_f64 v[138:139], s[10:11], v[136:137], v[134:135]
	v_add_f64 v[120:121], v[120:121], v[132:133]
	v_fma_f64 v[132:133], v[136:137], s[10:11], -v[134:135]
	v_mul_f64 v[134:135], v[118:119], s[34:35]
	v_add_f64 v[122:123], v[158:159], v[122:123]
	v_add_f64 v[132:133], v[132:133], v[160:161]
	v_fma_f64 v[158:159], v[130:131], s[24:25], -v[134:135]
	v_mul_f64 v[160:161], v[126:127], s[34:35]
	v_fmac_f64_e32 v[134:135], s[24:25], v[130:131]
	s_mov_b32 s13, 0x3fed1bb4
	v_add_f64 v[138:139], v[138:139], v[164:165]
	v_fma_f64 v[164:165], s[24:25], v[136:137], v[160:161]
	v_add_f64 v[134:135], v[134:135], v[162:163]
	v_fma_f64 v[160:161], v[136:137], s[24:25], -v[160:161]
	v_mul_f64 v[162:163], v[118:119], s[12:13]
	v_add_f64 v[158:159], v[158:159], v[168:169]
	v_add_f64 v[160:161], v[160:161], v[166:167]
	v_fma_f64 v[166:167], v[130:131], s[2:3], -v[162:163]
	v_mul_f64 v[168:169], v[126:127], s[12:13]
	v_fmac_f64_e32 v[162:163], s[2:3], v[130:131]
	v_add_f64 v[164:165], v[164:165], v[172:173]
	v_fma_f64 v[172:173], s[2:3], v[136:137], v[168:169]
	v_add_f64 v[162:163], v[162:163], v[170:171]
	v_fma_f64 v[168:169], v[136:137], s[2:3], -v[168:169]
	v_mul_f64 v[170:171], v[118:119], s[22:23]
	v_add_f64 v[168:169], v[168:169], v[174:175]
	v_fma_f64 v[174:175], v[130:131], s[16:17], -v[170:171]
	v_fmac_f64_e32 v[170:171], s[16:17], v[130:131]
	v_mul_f64 v[118:119], v[118:119], s[20:21]
	v_add_f64 v[166:167], v[166:167], v[176:177]
	v_mul_f64 v[176:177], v[126:127], s[22:23]
	v_add_f64 v[170:171], v[170:171], v[178:179]
	v_fma_f64 v[178:179], v[130:131], s[18:19], -v[118:119]
	v_mul_f64 v[126:127], v[126:127], s[20:21]
	v_fmac_f64_e32 v[118:119], s[18:19], v[130:131]
	v_add_f64 v[172:173], v[172:173], v[182:183]
	v_fma_f64 v[182:183], s[18:19], v[136:137], v[126:127]
	v_add_f64 v[118:119], v[118:119], v[122:123]
	v_fma_f64 v[122:123], v[136:137], s[18:19], -v[126:127]
	v_add_f64 v[126:127], v[104:105], v[106:107]
	v_add_f64 v[104:105], v[104:105], -v[106:107]
	v_add_f64 v[122:123], v[122:123], v[124:125]
	v_add_f64 v[124:125], v[114:115], v[116:117]
	v_mul_f64 v[106:107], v[104:105], s[20:21]
	v_add_f64 v[114:115], v[114:115], -v[116:117]
	v_fma_f64 v[116:117], v[124:125], s[18:19], -v[106:107]
	v_add_f64 v[116:117], v[116:117], v[128:129]
	v_mul_f64 v[128:129], v[114:115], s[20:21]
	v_fmac_f64_e32 v[106:107], s[18:19], v[124:125]
	v_fma_f64 v[130:131], s[18:19], v[126:127], v[128:129]
	v_add_f64 v[106:107], v[106:107], v[120:121]
	v_fma_f64 v[120:121], v[126:127], s[18:19], -v[128:129]
	v_mul_f64 v[128:129], v[104:105], s[30:31]
	v_add_f64 v[174:175], v[174:175], v[180:181]
	v_fma_f64 v[180:181], s[16:17], v[136:137], v[176:177]
	v_fma_f64 v[176:177], v[136:137], s[16:17], -v[176:177]
	v_add_f64 v[120:121], v[120:121], v[132:133]
	v_fma_f64 v[132:133], v[124:125], s[10:11], -v[128:129]
	v_mul_f64 v[136:137], v[114:115], s[30:31]
	v_fmac_f64_e32 v[128:129], s[10:11], v[124:125]
	v_add_f64 v[130:131], v[130:131], v[138:139]
	v_fma_f64 v[138:139], s[10:11], v[126:127], v[136:137]
	v_add_f64 v[128:129], v[128:129], v[134:135]
	v_fma_f64 v[134:135], v[126:127], s[10:11], -v[136:137]
	v_mul_f64 v[136:137], v[104:105], s[22:23]
	v_add_f64 v[132:133], v[132:133], v[158:159]
	v_add_f64 v[134:135], v[134:135], v[160:161]
	v_fma_f64 v[158:159], v[124:125], s[16:17], -v[136:137]
	v_mul_f64 v[160:161], v[114:115], s[22:23]
	v_fmac_f64_e32 v[136:137], s[16:17], v[124:125]
	v_add_f64 v[138:139], v[138:139], v[164:165]
	v_fma_f64 v[164:165], s[16:17], v[126:127], v[160:161]
	v_add_f64 v[136:137], v[136:137], v[162:163]
	v_fma_f64 v[160:161], v[126:127], s[16:17], -v[160:161]
	v_mul_f64 v[162:163], v[104:105], s[26:27]
	v_add_f64 v[190:191], v[194:195], v[190:191]
	v_add_f64 v[186:187], v[186:187], v[192:193]
	v_add_f64 v[188:189], v[188:189], v[196:197]
	v_add_f64 v[158:159], v[158:159], v[166:167]
	v_add_f64 v[160:161], v[160:161], v[168:169]
	v_fma_f64 v[166:167], v[124:125], s[24:25], -v[162:163]
	v_mul_f64 v[168:169], v[114:115], s[26:27]
	v_mul_f64 v[114:115], v[114:115], s[12:13]
	v_add_f64 v[180:181], v[180:181], v[190:191]
	v_add_f64 v[178:179], v[178:179], v[186:187]
	v_add_f64 v[182:183], v[182:183], v[188:189]
	v_add_f64 v[164:165], v[164:165], v[172:173]
	v_add_f64 v[166:167], v[166:167], v[174:175]
	v_fma_f64 v[172:173], s[24:25], v[126:127], v[168:169]
	v_fma_f64 v[174:175], s[2:3], v[126:127], v[114:115]
	v_add_f64 v[186:187], v[96:97], -v[98:99]
	v_add_f64 v[172:173], v[172:173], v[180:181]
	v_fmac_f64_e32 v[162:163], s[24:25], v[124:125]
	v_mul_f64 v[104:105], v[104:105], s[12:13]
	v_add_f64 v[174:175], v[174:175], v[182:183]
	v_add_f64 v[180:181], v[100:101], v[102:103]
	;; [unrolled: 1-line block ×3, first 2 shown]
	v_mul_f64 v[96:97], v[186:187], s[26:27]
	v_add_f64 v[176:177], v[176:177], v[184:185]
	v_add_f64 v[162:163], v[162:163], v[170:171]
	v_fma_f64 v[168:169], v[126:127], s[24:25], -v[168:169]
	v_fma_f64 v[170:171], v[124:125], s[2:3], -v[104:105]
	v_fmac_f64_e32 v[104:105], s[2:3], v[124:125]
	v_add_f64 v[184:185], v[100:101], -v[102:103]
	v_fma_f64 v[98:99], v[180:181], s[24:25], -v[96:97]
	v_add_f64 v[168:169], v[168:169], v[176:177]
	v_add_f64 v[176:177], v[104:105], v[118:119]
	v_fma_f64 v[104:105], v[126:127], s[2:3], -v[114:115]
	v_add_f64 v[114:115], v[98:99], v[116:117]
	v_mul_f64 v[98:99], v[184:185], s[26:27]
	v_fma_f64 v[100:101], s[24:25], v[182:183], v[98:99]
	v_add_f64 v[116:117], v[100:101], v[130:131]
	v_mul_f64 v[100:101], v[186:187], s[28:29]
	v_fma_f64 v[102:103], v[180:181], s[16:17], -v[100:101]
	v_add_f64 v[118:119], v[102:103], v[132:133]
	v_mul_f64 v[102:103], v[184:185], s[28:29]
	v_add_f64 v[170:171], v[170:171], v[178:179]
	v_add_f64 v[178:179], v[104:105], v[122:123]
	v_fma_f64 v[98:99], v[182:183], s[24:25], -v[98:99]
	v_fma_f64 v[104:105], s[16:17], v[182:183], v[102:103]
	v_fmac_f64_e32 v[96:97], s[24:25], v[180:181]
	v_add_f64 v[98:99], v[98:99], v[120:121]
	v_add_f64 v[120:121], v[104:105], v[138:139]
	v_mul_f64 v[104:105], v[186:187], s[20:21]
	v_add_f64 v[96:97], v[96:97], v[106:107]
	v_fma_f64 v[106:107], v[180:181], s[18:19], -v[104:105]
	v_add_f64 v[122:123], v[106:107], v[158:159]
	v_mul_f64 v[106:107], v[184:185], s[20:21]
	v_fma_f64 v[102:103], v[182:183], s[16:17], -v[102:103]
	v_fma_f64 v[124:125], s[18:19], v[182:183], v[106:107]
	v_fma_f64 v[106:107], v[182:183], s[18:19], -v[106:107]
	v_mul_f64 v[138:139], v[186:187], s[14:15]
	v_fmac_f64_e32 v[100:101], s[16:17], v[180:181]
	v_add_f64 v[102:103], v[102:103], v[134:135]
	v_fmac_f64_e32 v[104:105], s[18:19], v[180:181]
	v_add_f64 v[106:107], v[106:107], v[160:161]
	v_mul_f64 v[130:131], v[186:187], s[12:13]
	v_mul_f64 v[132:133], v[184:185], s[12:13]
	v_fma_f64 v[134:135], v[180:181], s[10:11], -v[138:139]
	v_mul_f64 v[160:161], v[184:185], s[14:15]
	v_fmac_f64_e32 v[138:139], s[10:11], v[180:181]
	v_add_f64 v[100:101], v[100:101], v[128:129]
	v_add_f64 v[104:105], v[104:105], v[136:137]
	v_fma_f64 v[126:127], v[180:181], s[2:3], -v[130:131]
	v_fma_f64 v[128:129], s[2:3], v[182:183], v[132:133]
	v_fmac_f64_e32 v[130:131], s[2:3], v[180:181]
	v_fma_f64 v[132:133], v[182:183], s[2:3], -v[132:133]
	v_fma_f64 v[136:137], s[10:11], v[182:183], v[160:161]
	v_add_f64 v[158:159], v[138:139], v[176:177]
	v_fma_f64 v[138:139], v[182:183], s[10:11], -v[160:161]
	s_movk_i32 s2, 0x2000
	v_add_f64 v[124:125], v[124:125], v[164:165]
	v_add_f64 v[126:127], v[126:127], v[166:167]
	v_add_f64 v[128:129], v[128:129], v[172:173]
	v_add_f64 v[130:131], v[130:131], v[162:163]
	v_add_f64 v[132:133], v[132:133], v[168:169]
	v_add_f64 v[134:135], v[134:135], v[170:171]
	v_add_f64 v[136:137], v[136:137], v[174:175]
	v_add_f64 v[160:161], v[138:139], v[178:179]
	ds_write_b128 v140, v[108:111]
	ds_write_b128 v140, v[114:117] offset:768
	ds_write_b128 v140, v[118:121] offset:1536
	;; [unrolled: 1-line block ×10, first 2 shown]
	v_add_co_u32_e64 v108, s[2:3], s2, v112
	s_waitcnt lgkmcnt(0)
	s_nop 0
	v_addc_co_u32_e64 v109, s[2:3], 0, v113, s[2:3]
	; wave barrier
	global_load_dwordx4 v[114:117], v[108:109], off offset:256
	s_mov_b64 s[2:3], 0x2100
	v_lshl_add_u64 v[108:109], v[112:113], 0, s[2:3]
	global_load_dwordx4 v[118:121], v[108:109], off offset:2112
	s_movk_i32 s2, 0x3000
	v_add_co_u32_e64 v138, s[2:3], s2, v112
	s_nop 1
	v_addc_co_u32_e64 v139, s[2:3], 0, v113, s[2:3]
	global_load_dwordx4 v[110:113], v[138:139], off offset:384
	global_load_dwordx4 v[122:125], v[138:139], off offset:2496
	;; [unrolled: 1-line block ×6, first 2 shown]
	ds_read_b128 v[162:165], v140
	ds_read_b128 v[166:169], v140 offset:768
	ds_read_b128 v[174:177], v140 offset:2112
	s_waitcnt vmcnt(7) lgkmcnt(2)
	v_mul_f64 v[138:139], v[164:165], v[116:117]
	v_mul_f64 v[172:173], v[162:163], v[116:117]
	v_fma_f64 v[170:171], v[162:163], v[114:115], -v[138:139]
	v_fmac_f64_e32 v[172:173], v[164:165], v[114:115]
	ds_read_b128 v[114:117], v140 offset:2880
	ds_write_b128 v140, v[170:173]
	ds_read_b128 v[170:173], v140 offset:4224
	s_waitcnt vmcnt(6) lgkmcnt(3)
	v_mul_f64 v[138:139], v[176:177], v[120:121]
	v_mul_f64 v[164:165], v[174:175], v[120:121]
	v_fma_f64 v[162:163], v[174:175], v[118:119], -v[138:139]
	v_fmac_f64_e32 v[164:165], v[176:177], v[118:119]
	ds_read_b128 v[118:121], v140 offset:4992
	ds_read_b128 v[174:177], v140 offset:6336
	ds_write_b128 v140, v[162:165] offset:2112
	s_waitcnt vmcnt(5) lgkmcnt(3)
	v_mul_f64 v[138:139], v[172:173], v[112:113]
	v_mul_f64 v[164:165], v[170:171], v[112:113]
	v_fma_f64 v[162:163], v[170:171], v[110:111], -v[138:139]
	v_fmac_f64_e32 v[164:165], v[172:173], v[110:111]
	ds_read_b128 v[110:113], v140 offset:7104
	ds_write_b128 v140, v[162:165] offset:4224
	s_waitcnt vmcnt(4) lgkmcnt(3)
	v_mul_f64 v[138:139], v[176:177], v[124:125]
	v_mul_f64 v[164:165], v[174:175], v[124:125]
	v_fma_f64 v[162:163], v[174:175], v[122:123], -v[138:139]
	v_fmac_f64_e32 v[164:165], v[176:177], v[122:123]
	s_waitcnt vmcnt(3)
	v_mul_f64 v[122:123], v[168:169], v[128:129]
	v_mul_f64 v[124:125], v[166:167], v[128:129]
	v_fma_f64 v[122:123], v[166:167], v[126:127], -v[122:123]
	v_fmac_f64_e32 v[124:125], v[168:169], v[126:127]
	ds_write_b128 v140, v[122:125] offset:768
	s_waitcnt vmcnt(2)
	v_mul_f64 v[122:123], v[116:117], v[132:133]
	v_mul_f64 v[124:125], v[114:115], v[132:133]
	v_fma_f64 v[122:123], v[114:115], v[130:131], -v[122:123]
	v_fmac_f64_e32 v[124:125], v[116:117], v[130:131]
	s_waitcnt vmcnt(1)
	v_mul_f64 v[114:115], v[120:121], v[136:137]
	v_mul_f64 v[116:117], v[118:119], v[136:137]
	v_fma_f64 v[114:115], v[118:119], v[134:135], -v[114:115]
	v_fmac_f64_e32 v[116:117], v[120:121], v[134:135]
	ds_write_b128 v140, v[114:117] offset:4992
	s_waitcnt vmcnt(0) lgkmcnt(3)
	v_mul_f64 v[114:115], v[112:113], v[160:161]
	v_mul_f64 v[116:117], v[110:111], v[160:161]
	v_fma_f64 v[114:115], v[110:111], v[158:159], -v[114:115]
	v_fmac_f64_e32 v[116:117], v[112:113], v[158:159]
	ds_write_b128 v140, v[162:165] offset:6336
	ds_write_b128 v140, v[122:125] offset:2880
	;; [unrolled: 1-line block ×3, first 2 shown]
	s_and_saveexec_b64 s[10:11], vcc
	s_cbranch_execz .LBB0_17
; %bb.16:
	global_load_dwordx4 v[110:113], v[108:109], off offset:1536
	global_load_dwordx4 v[114:117], v[108:109], off offset:3648
	s_movk_i32 s2, 0x1000
	v_add_co_u32_e64 v108, s[2:3], s2, v108
	s_nop 1
	v_addc_co_u32_e64 v109, s[2:3], 0, v109, s[2:3]
	global_load_dwordx4 v[118:121], v[108:109], off offset:1664
	global_load_dwordx4 v[122:125], v[108:109], off offset:3776
	ds_read_b128 v[126:129], v140 offset:1536
	ds_read_b128 v[130:133], v140 offset:3648
	ds_read_b128 v[134:137], v140 offset:5760
	ds_read_b128 v[158:161], v140 offset:7872
	s_waitcnt vmcnt(3) lgkmcnt(3)
	v_mul_f64 v[108:109], v[128:129], v[112:113]
	v_mul_f64 v[164:165], v[126:127], v[112:113]
	s_waitcnt vmcnt(2) lgkmcnt(2)
	v_mul_f64 v[138:139], v[132:133], v[116:117]
	v_mul_f64 v[112:113], v[130:131], v[116:117]
	v_fma_f64 v[162:163], v[126:127], v[110:111], -v[108:109]
	v_fmac_f64_e32 v[164:165], v[128:129], v[110:111]
	v_fma_f64 v[110:111], v[130:131], v[114:115], -v[138:139]
	v_fmac_f64_e32 v[112:113], v[132:133], v[114:115]
	ds_write_b128 v140, v[162:165] offset:1536
	ds_write_b128 v140, v[110:113] offset:3648
	s_waitcnt vmcnt(1) lgkmcnt(3)
	v_mul_f64 v[108:109], v[136:137], v[120:121]
	v_mul_f64 v[110:111], v[134:135], v[120:121]
	s_waitcnt vmcnt(0) lgkmcnt(2)
	v_mul_f64 v[112:113], v[160:161], v[124:125]
	v_mul_f64 v[114:115], v[158:159], v[124:125]
	v_fma_f64 v[108:109], v[134:135], v[118:119], -v[108:109]
	v_fmac_f64_e32 v[110:111], v[136:137], v[118:119]
	v_fma_f64 v[112:113], v[158:159], v[122:123], -v[112:113]
	v_fmac_f64_e32 v[114:115], v[160:161], v[122:123]
	ds_write_b128 v140, v[108:111] offset:5760
	ds_write_b128 v140, v[112:115] offset:7872
.LBB0_17:
	s_or_b64 exec, exec, s[10:11]
	s_waitcnt lgkmcnt(0)
	; wave barrier
	s_waitcnt lgkmcnt(0)
	ds_read_b128 v[124:127], v140
	ds_read_b128 v[112:115], v140 offset:768
	ds_read_b128 v[128:131], v140 offset:2112
	;; [unrolled: 1-line block ×7, first 2 shown]
	s_and_saveexec_b64 s[2:3], vcc
	s_cbranch_execz .LBB0_19
; %bb.18:
	ds_read_b128 v[104:107], v140 offset:1536
	ds_read_b128 v[100:103], v140 offset:3648
	;; [unrolled: 1-line block ×4, first 2 shown]
.LBB0_19:
	s_or_b64 exec, exec, s[2:3]
	s_waitcnt lgkmcnt(3)
	v_add_f64 v[136:137], v[124:125], -v[136:137]
	s_waitcnt lgkmcnt(1)
	v_add_f64 v[162:163], v[128:129], -v[132:133]
	v_add_f64 v[138:139], v[126:127], -v[138:139]
	v_fma_f64 v[158:159], v[124:125], 2.0, -v[136:137]
	v_add_f64 v[132:133], v[130:131], -v[134:135]
	v_fma_f64 v[124:125], v[128:129], 2.0, -v[162:163]
	v_fma_f64 v[160:161], v[126:127], 2.0, -v[138:139]
	;; [unrolled: 1-line block ×3, first 2 shown]
	v_add_f64 v[124:125], v[158:159], -v[124:125]
	v_add_f64 v[126:127], v[160:161], -v[126:127]
	v_fma_f64 v[128:129], v[158:159], 2.0, -v[124:125]
	v_add_f64 v[122:123], v[114:115], -v[122:123]
	s_waitcnt lgkmcnt(0)
	v_add_f64 v[158:159], v[108:109], -v[116:117]
	v_fma_f64 v[130:131], v[160:161], 2.0, -v[126:127]
	v_add_f64 v[134:135], v[138:139], -v[162:163]
	v_add_f64 v[116:117], v[110:111], -v[118:119]
	v_fma_f64 v[108:109], v[108:109], 2.0, -v[158:159]
	v_add_f64 v[118:119], v[122:123], -v[158:159]
	v_add_f64 v[158:159], v[104:105], -v[96:97]
	;; [unrolled: 1-line block ×5, first 2 shown]
	v_fma_f64 v[104:105], v[104:105], 2.0, -v[158:159]
	v_fma_f64 v[106:107], v[106:107], 2.0, -v[160:161]
	v_fma_f64 v[92:93], v[100:101], 2.0, -v[162:163]
	v_fma_f64 v[94:95], v[102:103], 2.0, -v[164:165]
	v_add_f64 v[120:121], v[112:113], -v[120:121]
	v_add_f64 v[96:97], v[104:105], -v[92:93]
	;; [unrolled: 1-line block ×3, first 2 shown]
	v_fma_f64 v[112:113], v[112:113], 2.0, -v[120:121]
	v_fma_f64 v[114:115], v[114:115], 2.0, -v[122:123]
	;; [unrolled: 1-line block ×5, first 2 shown]
	v_add_f64 v[104:105], v[158:159], v[164:165]
	v_add_f64 v[106:107], v[160:161], -v[162:163]
	v_add_f64 v[132:133], v[136:137], v[132:133]
	v_add_f64 v[108:109], v[112:113], -v[108:109]
	v_add_f64 v[110:111], v[114:115], -v[110:111]
	v_add_f64 v[116:117], v[120:121], v[116:117]
	v_fma_f64 v[100:101], v[158:159], 2.0, -v[104:105]
	v_fma_f64 v[102:103], v[160:161], 2.0, -v[106:107]
	;; [unrolled: 1-line block ×8, first 2 shown]
	s_waitcnt lgkmcnt(0)
	; wave barrier
	ds_write_b128 v149, v[128:131]
	ds_write_b128 v149, v[136:139] offset:16
	ds_write_b128 v149, v[124:127] offset:32
	;; [unrolled: 1-line block ×3, first 2 shown]
	ds_write_b128 v150, v[112:115]
	ds_write_b128 v150, v[120:123] offset:16
	ds_write_b128 v150, v[108:111] offset:32
	;; [unrolled: 1-line block ×3, first 2 shown]
	s_and_saveexec_b64 s[2:3], vcc
	s_cbranch_execz .LBB0_21
; %bb.20:
	ds_write_b128 v148, v[92:95]
	ds_write_b128 v148, v[100:103] offset:16
	ds_write_b128 v148, v[96:99] offset:32
	;; [unrolled: 1-line block ×3, first 2 shown]
.LBB0_21:
	s_or_b64 exec, exec, s[2:3]
	s_waitcnt lgkmcnt(0)
	; wave barrier
	s_waitcnt lgkmcnt(0)
	ds_read_b128 v[112:115], v140
	ds_read_b128 v[108:111], v140 offset:768
	ds_read_b128 v[136:139], v140 offset:2112
	;; [unrolled: 1-line block ×7, first 2 shown]
	s_and_saveexec_b64 s[2:3], vcc
	s_cbranch_execz .LBB0_23
; %bb.22:
	ds_read_b128 v[92:95], v140 offset:1536
	ds_read_b128 v[100:103], v140 offset:3648
	;; [unrolled: 1-line block ×4, first 2 shown]
.LBB0_23:
	s_or_b64 exec, exec, s[2:3]
	s_waitcnt lgkmcnt(5)
	v_mul_f64 v[148:149], v[42:43], v[138:139]
	v_fmac_f64_e32 v[148:149], v[40:41], v[136:137]
	v_mul_f64 v[136:137], v[42:43], v[136:137]
	v_fma_f64 v[136:137], v[40:41], v[138:139], -v[136:137]
	s_waitcnt lgkmcnt(3)
	v_mul_f64 v[138:139], v[38:39], v[134:135]
	v_fmac_f64_e32 v[138:139], v[36:37], v[132:133]
	v_mul_f64 v[132:133], v[38:39], v[132:133]
	v_fma_f64 v[132:133], v[36:37], v[134:135], -v[132:133]
	;; [unrolled: 5-line block ×3, first 2 shown]
	v_mul_f64 v[130:131], v[42:43], v[126:127]
	v_fmac_f64_e32 v[130:131], v[40:41], v[124:125]
	v_mul_f64 v[124:125], v[42:43], v[124:125]
	v_fma_f64 v[124:125], v[40:41], v[126:127], -v[124:125]
	v_mul_f64 v[126:127], v[38:39], v[122:123]
	v_fmac_f64_e32 v[126:127], v[36:37], v[120:121]
	v_mul_f64 v[120:121], v[38:39], v[120:121]
	v_mul_f64 v[158:159], v[42:43], v[102:103]
	v_mul_f64 v[42:43], v[42:43], v[100:101]
	v_fma_f64 v[120:121], v[36:37], v[122:123], -v[120:121]
	s_waitcnt lgkmcnt(0)
	v_mul_f64 v[122:123], v[34:35], v[118:119]
	v_fmac_f64_e32 v[158:159], v[40:41], v[100:101]
	v_fma_f64 v[40:41], v[40:41], v[102:103], -v[42:43]
	v_mul_f64 v[42:43], v[38:39], v[98:99]
	v_mul_f64 v[38:39], v[38:39], v[96:97]
	v_fmac_f64_e32 v[122:123], v[32:33], v[116:117]
	v_mul_f64 v[116:117], v[34:35], v[116:117]
	v_fmac_f64_e32 v[42:43], v[36:37], v[96:97]
	v_fma_f64 v[36:37], v[36:37], v[98:99], -v[38:39]
	v_mul_f64 v[38:39], v[34:35], v[106:107]
	v_mul_f64 v[34:35], v[34:35], v[104:105]
	v_fma_f64 v[116:117], v[32:33], v[118:119], -v[116:117]
	v_fmac_f64_e32 v[38:39], v[32:33], v[104:105]
	v_fma_f64 v[32:33], v[32:33], v[106:107], -v[34:35]
	v_add_f64 v[34:35], v[112:113], -v[138:139]
	v_add_f64 v[104:105], v[136:137], -v[128:129]
	;; [unrolled: 1-line block ×4, first 2 shown]
	v_fma_f64 v[98:99], v[136:137], 2.0, -v[104:105]
	v_add_f64 v[104:105], v[34:35], v[104:105]
	v_fma_f64 v[100:101], v[112:113], 2.0, -v[34:35]
	v_fma_f64 v[96:97], v[148:149], 2.0, -v[106:107]
	v_add_f64 v[106:107], v[118:119], -v[106:107]
	v_fma_f64 v[112:113], v[34:35], 2.0, -v[104:105]
	v_add_f64 v[34:35], v[108:109], -v[126:127]
	v_add_f64 v[126:127], v[110:111], -v[120:121]
	v_add_f64 v[122:123], v[130:131], -v[122:123]
	v_add_f64 v[128:129], v[124:125], -v[116:117]
	v_fma_f64 v[102:103], v[114:115], 2.0, -v[118:119]
	v_fma_f64 v[114:115], v[118:119], 2.0, -v[106:107]
	;; [unrolled: 1-line block ×6, first 2 shown]
	v_add_f64 v[108:109], v[118:119], -v[108:109]
	v_add_f64 v[110:111], v[120:121], -v[110:111]
	v_fma_f64 v[116:117], v[118:119], 2.0, -v[108:109]
	v_fma_f64 v[118:119], v[120:121], 2.0, -v[110:111]
	v_add_f64 v[120:121], v[34:35], v[128:129]
	v_fma_f64 v[124:125], v[34:35], 2.0, -v[120:121]
	v_add_f64 v[34:35], v[92:93], -v[42:43]
	v_add_f64 v[128:129], v[94:95], -v[36:37]
	;; [unrolled: 1-line block ×6, first 2 shown]
	v_fma_f64 v[92:93], v[92:93], 2.0, -v[34:35]
	v_fma_f64 v[94:95], v[94:95], 2.0, -v[128:129]
	;; [unrolled: 1-line block ×4, first 2 shown]
	v_add_f64 v[40:41], v[34:35], v[32:33]
	v_add_f64 v[42:43], v[128:129], -v[42:43]
	v_fma_f64 v[100:101], v[100:101], 2.0, -v[96:97]
	v_fma_f64 v[102:103], v[102:103], 2.0, -v[98:99]
	v_add_f64 v[122:123], v[126:127], -v[122:123]
	v_add_f64 v[36:37], v[92:93], -v[36:37]
	;; [unrolled: 1-line block ×3, first 2 shown]
	v_fma_f64 v[32:33], v[34:35], 2.0, -v[40:41]
	v_fma_f64 v[34:35], v[128:129], 2.0, -v[42:43]
	;; [unrolled: 1-line block ×3, first 2 shown]
	s_waitcnt lgkmcnt(0)
	; wave barrier
	ds_write_b128 v151, v[100:103]
	ds_write_b128 v151, v[112:115] offset:64
	ds_write_b128 v151, v[96:99] offset:128
	;; [unrolled: 1-line block ×3, first 2 shown]
	ds_write_b128 v152, v[116:119]
	ds_write_b128 v152, v[124:127] offset:64
	ds_write_b128 v152, v[108:111] offset:128
	;; [unrolled: 1-line block ×3, first 2 shown]
	s_and_saveexec_b64 s[2:3], vcc
	s_cbranch_execz .LBB0_25
; %bb.24:
	s_movk_i32 s10, 0x3f0
	v_and_or_b32 v96, v153, s10, v141
	v_fma_f64 v[94:95], v[94:95], 2.0, -v[38:39]
	v_fma_f64 v[92:93], v[92:93], 2.0, -v[36:37]
	v_lshlrev_b32_e32 v96, 4, v96
	ds_write_b128 v96, v[92:95]
	ds_write_b128 v96, v[32:35] offset:64
	ds_write_b128 v96, v[36:39] offset:128
	;; [unrolled: 1-line block ×3, first 2 shown]
.LBB0_25:
	s_or_b64 exec, exec, s[2:3]
	s_waitcnt lgkmcnt(0)
	; wave barrier
	s_waitcnt lgkmcnt(0)
	ds_read_b128 v[100:103], v140
	ds_read_b128 v[96:99], v140 offset:768
	ds_read_b128 v[116:119], v140 offset:5632
	;; [unrolled: 1-line block ×8, first 2 shown]
	s_and_saveexec_b64 s[2:3], s[0:1]
	s_cbranch_execz .LBB0_27
; %bb.26:
	ds_read_b128 v[32:35], v140 offset:2304
	ds_read_b128 v[36:39], v140 offset:5120
	;; [unrolled: 1-line block ×3, first 2 shown]
.LBB0_27:
	s_or_b64 exec, exec, s[2:3]
	s_waitcnt lgkmcnt(4)
	v_mul_f64 v[128:129], v[50:51], v[126:127]
	v_fmac_f64_e32 v[128:129], v[48:49], v[124:125]
	v_mul_f64 v[124:125], v[50:51], v[124:125]
	v_fma_f64 v[124:125], v[48:49], v[126:127], -v[124:125]
	v_mul_f64 v[126:127], v[46:47], v[118:119]
	v_fmac_f64_e32 v[126:127], v[44:45], v[116:117]
	v_mul_f64 v[116:117], v[46:47], v[116:117]
	v_fma_f64 v[116:117], v[44:45], v[118:119], -v[116:117]
	s_waitcnt lgkmcnt(2)
	v_mul_f64 v[118:119], v[50:51], v[122:123]
	s_waitcnt lgkmcnt(0)
	v_mul_f64 v[136:137], v[46:47], v[106:107]
	v_fmac_f64_e32 v[118:119], v[48:49], v[120:121]
	v_mul_f64 v[120:121], v[50:51], v[120:121]
	v_mul_f64 v[132:133], v[50:51], v[110:111]
	v_fmac_f64_e32 v[136:137], v[44:45], v[104:105]
	v_mul_f64 v[104:105], v[46:47], v[104:105]
	v_fma_f64 v[120:121], v[48:49], v[122:123], -v[120:121]
	v_mul_f64 v[122:123], v[46:47], v[114:115]
	v_fmac_f64_e32 v[132:133], v[48:49], v[108:109]
	v_mul_f64 v[108:109], v[50:51], v[108:109]
	v_fma_f64 v[138:139], v[44:45], v[106:107], -v[104:105]
	v_add_f64 v[106:107], v[128:129], v[126:127]
	s_mov_b32 s2, 0xe8584caa
	v_fmac_f64_e32 v[122:123], v[44:45], v[112:113]
	v_mul_f64 v[112:113], v[46:47], v[112:113]
	v_fma_f64 v[134:135], v[48:49], v[110:111], -v[108:109]
	v_add_f64 v[104:105], v[100:101], v[128:129]
	v_fmac_f64_e32 v[100:101], -0.5, v[106:107]
	v_add_f64 v[106:107], v[124:125], -v[116:117]
	s_mov_b32 s3, 0xbfebb67a
	s_mov_b32 s11, 0x3febb67a
	;; [unrolled: 1-line block ×3, first 2 shown]
	v_add_f64 v[110:111], v[124:125], v[116:117]
	v_fma_f64 v[130:131], v[44:45], v[114:115], -v[112:113]
	v_fma_f64 v[108:109], s[2:3], v[106:107], v[100:101]
	v_fmac_f64_e32 v[100:101], s[10:11], v[106:107]
	v_add_f64 v[106:107], v[102:103], v[124:125]
	v_fmac_f64_e32 v[102:103], -0.5, v[110:111]
	v_add_f64 v[112:113], v[128:129], -v[126:127]
	v_add_f64 v[114:115], v[118:119], v[122:123]
	v_fma_f64 v[110:111], s[10:11], v[112:113], v[102:103]
	v_fmac_f64_e32 v[102:103], s[2:3], v[112:113]
	v_add_f64 v[112:113], v[96:97], v[118:119]
	v_fmac_f64_e32 v[96:97], -0.5, v[114:115]
	v_add_f64 v[114:115], v[120:121], -v[130:131]
	v_add_f64 v[106:107], v[106:107], v[116:117]
	v_fma_f64 v[116:117], s[2:3], v[114:115], v[96:97]
	v_fmac_f64_e32 v[96:97], s[10:11], v[114:115]
	v_add_f64 v[114:115], v[98:99], v[120:121]
	v_add_f64 v[120:121], v[120:121], v[130:131]
	;; [unrolled: 1-line block ×3, first 2 shown]
	v_fmac_f64_e32 v[98:99], -0.5, v[120:121]
	v_add_f64 v[120:121], v[118:119], -v[122:123]
	v_add_f64 v[122:123], v[132:133], v[136:137]
	v_add_f64 v[104:105], v[104:105], v[126:127]
	v_fma_f64 v[118:119], s[10:11], v[120:121], v[98:99]
	v_fmac_f64_e32 v[98:99], s[2:3], v[120:121]
	v_add_f64 v[120:121], v[92:93], v[132:133]
	v_fmac_f64_e32 v[92:93], -0.5, v[122:123]
	v_add_f64 v[122:123], v[134:135], -v[138:139]
	v_add_f64 v[126:127], v[134:135], v[138:139]
	v_fma_f64 v[124:125], s[2:3], v[122:123], v[92:93]
	v_fmac_f64_e32 v[92:93], s[10:11], v[122:123]
	v_add_f64 v[122:123], v[94:95], v[134:135]
	v_fmac_f64_e32 v[94:95], -0.5, v[126:127]
	v_add_f64 v[128:129], v[132:133], -v[136:137]
	v_add_f64 v[114:115], v[114:115], v[130:131]
	v_add_f64 v[120:121], v[120:121], v[136:137]
	;; [unrolled: 1-line block ×3, first 2 shown]
	v_fma_f64 v[126:127], s[10:11], v[128:129], v[94:95]
	v_fmac_f64_e32 v[94:95], s[2:3], v[128:129]
	s_waitcnt lgkmcnt(0)
	; wave barrier
	ds_write_b128 v154, v[104:107]
	ds_write_b128 v154, v[108:111] offset:256
	ds_write_b128 v154, v[100:103] offset:512
	ds_write_b128 v155, v[112:115]
	ds_write_b128 v155, v[116:119] offset:256
	ds_write_b128 v155, v[96:99] offset:512
	;; [unrolled: 3-line block ×3, first 2 shown]
	s_and_saveexec_b64 s[12:13], s[0:1]
	s_cbranch_execz .LBB0_29
; %bb.28:
	v_mul_f64 v[92:93], v[50:51], v[36:37]
	v_fma_f64 v[96:97], v[48:49], v[38:39], -v[92:93]
	v_mul_f64 v[92:93], v[46:47], v[40:41]
	v_fma_f64 v[98:99], v[44:45], v[42:43], -v[92:93]
	v_mul_f64 v[38:39], v[50:51], v[38:39]
	v_mul_f64 v[42:43], v[46:47], v[42:43]
	v_add_f64 v[92:93], v[98:99], v[96:97]
	v_fmac_f64_e32 v[38:39], v[48:49], v[36:37]
	v_fmac_f64_e32 v[42:43], v[44:45], v[40:41]
	v_fma_f64 v[94:95], -0.5, v[92:93], v[34:35]
	v_add_f64 v[40:41], v[38:39], -v[42:43]
	v_add_f64 v[34:35], v[96:97], v[34:35]
	v_fma_f64 v[36:37], s[2:3], v[40:41], v[94:95]
	v_fmac_f64_e32 v[94:95], s[10:11], v[40:41]
	v_add_f64 v[40:41], v[98:99], v[34:35]
	v_add_f64 v[34:35], v[42:43], v[38:39]
	v_fma_f64 v[92:93], -0.5, v[34:35], v[32:33]
	v_add_f64 v[32:33], v[32:33], v[38:39]
	v_add_f64 v[38:39], v[42:43], v[32:33]
	v_mul_u32_u24_e32 v32, 48, v145
	v_or_b32_e32 v32, v32, v147
	v_add_f64 v[44:45], v[96:97], -v[98:99]
	v_lshlrev_b32_e32 v32, 4, v32
	v_fma_f64 v[34:35], s[10:11], v[44:45], v[92:93]
	v_fmac_f64_e32 v[92:93], s[2:3], v[44:45]
	ds_write_b128 v32, v[38:41]
	ds_write_b128 v32, v[92:95] offset:256
	ds_write_b128 v32, v[34:37] offset:512
.LBB0_29:
	s_or_b64 exec, exec, s[12:13]
	s_waitcnt lgkmcnt(0)
	; wave barrier
	s_waitcnt lgkmcnt(0)
	ds_read_b128 v[36:39], v140
	ds_read_b128 v[32:35], v140 offset:768
	ds_read_b128 v[46:49], v140 offset:1536
	;; [unrolled: 1-line block ×10, first 2 shown]
	s_waitcnt lgkmcnt(9)
	v_mul_f64 v[124:125], v[66:67], v[34:35]
	v_fmac_f64_e32 v[124:125], v[64:65], v[32:33]
	v_mul_f64 v[32:33], v[66:67], v[32:33]
	v_fma_f64 v[64:65], v[64:65], v[34:35], -v[32:33]
	s_waitcnt lgkmcnt(8)
	v_mul_f64 v[32:33], v[62:63], v[46:47]
	v_mul_f64 v[66:67], v[62:63], v[48:49]
	v_fma_f64 v[62:63], v[60:61], v[48:49], -v[32:33]
	s_waitcnt lgkmcnt(7)
	v_mul_f64 v[126:127], v[58:59], v[94:95]
	v_mul_f64 v[32:33], v[58:59], v[92:93]
	v_fmac_f64_e32 v[126:127], v[56:57], v[92:93]
	v_fma_f64 v[92:93], v[56:57], v[94:95], -v[32:33]
	s_waitcnt lgkmcnt(6)
	v_mul_f64 v[32:33], v[54:55], v[96:97]
	v_mul_f64 v[56:57], v[54:55], v[98:99]
	v_fma_f64 v[54:55], v[52:53], v[98:99], -v[32:33]
	s_waitcnt lgkmcnt(5)
	v_mul_f64 v[32:33], v[82:83], v[100:101]
	v_fma_f64 v[48:49], v[80:81], v[102:103], -v[32:33]
	s_waitcnt lgkmcnt(4)
	v_mul_f64 v[32:33], v[78:79], v[104:105]
	v_fmac_f64_e32 v[56:57], v[52:53], v[96:97]
	v_fma_f64 v[52:53], v[76:77], v[106:107], -v[32:33]
	s_waitcnt lgkmcnt(3)
	v_mul_f64 v[58:59], v[74:75], v[110:111]
	v_mul_f64 v[32:33], v[74:75], v[108:109]
	v_fmac_f64_e32 v[66:67], v[60:61], v[46:47]
	v_fmac_f64_e32 v[58:59], v[72:73], v[108:109]
	v_fma_f64 v[60:61], v[72:73], v[110:111], -v[32:33]
	s_waitcnt lgkmcnt(2)
	v_mul_f64 v[72:73], v[70:71], v[114:115]
	v_mul_f64 v[32:33], v[70:71], v[112:113]
	v_fmac_f64_e32 v[72:73], v[68:69], v[112:113]
	v_fma_f64 v[68:69], v[68:69], v[114:115], -v[32:33]
	s_waitcnt lgkmcnt(1)
	v_mul_f64 v[32:33], v[90:91], v[116:117]
	v_fma_f64 v[74:75], v[88:89], v[118:119], -v[32:33]
	s_waitcnt lgkmcnt(0)
	v_mul_f64 v[32:33], v[86:87], v[120:121]
	v_mul_f64 v[50:51], v[78:79], v[106:107]
	v_fma_f64 v[78:79], v[84:85], v[122:123], -v[32:33]
	v_add_f64 v[32:33], v[36:37], v[124:125]
	v_add_f64 v[34:35], v[38:39], v[64:65]
	;; [unrolled: 1-line block ×4, first 2 shown]
	v_mul_f64 v[46:47], v[82:83], v[102:103]
	v_add_f64 v[32:33], v[32:33], v[126:127]
	v_add_f64 v[34:35], v[34:35], v[92:93]
	v_fmac_f64_e32 v[46:47], v[80:81], v[100:101]
	v_add_f64 v[32:33], v[32:33], v[56:57]
	v_add_f64 v[34:35], v[34:35], v[54:55]
	v_fmac_f64_e32 v[50:51], v[76:77], v[104:105]
	v_add_f64 v[32:33], v[32:33], v[46:47]
	v_add_f64 v[34:35], v[34:35], v[48:49]
	;; [unrolled: 1-line block ×4, first 2 shown]
	v_mad_u64_u32 v[42:43], s[0:1], s6, v146, 0
	v_mul_f64 v[70:71], v[90:91], v[118:119]
	v_add_f64 v[32:33], v[32:33], v[58:59]
	v_add_f64 v[34:35], v[34:35], v[60:61]
	v_mov_b32_e32 v40, s8
	v_mov_b32_e32 v41, s9
	v_fmac_f64_e32 v[70:71], v[88:89], v[116:117]
	v_mul_f64 v[76:77], v[86:87], v[122:123]
	v_add_f64 v[32:33], v[32:33], v[72:73]
	v_add_f64 v[34:35], v[34:35], v[68:69]
	s_mov_b32 s14, 0xf8bb580b
	s_mov_b32 s2, 0x8eee2c13
	;; [unrolled: 1-line block ×9, first 2 shown]
	v_fmac_f64_e32 v[76:77], v[84:85], v[120:121]
	v_add_f64 v[32:33], v[32:33], v[70:71]
	v_add_f64 v[34:35], v[34:35], v[74:75]
	v_add_f64 v[82:83], v[64:65], v[78:79]
	v_add_f64 v[64:65], v[64:65], -v[78:79]
	s_mov_b32 s15, 0xbfe14ced
	s_mov_b32 s3, 0xbfed1bb4
	;; [unrolled: 1-line block ×9, first 2 shown]
	v_add_f64 v[32:33], v[32:33], v[76:77]
	v_add_f64 v[34:35], v[34:35], v[78:79]
	;; [unrolled: 1-line block ×3, first 2 shown]
	v_add_f64 v[76:77], v[124:125], -v[76:77]
	v_mul_f64 v[78:79], v[64:65], s[14:15]
	v_mul_f64 v[86:87], v[82:83], s[16:17]
	s_mov_b32 s19, 0x3fe14ced
	s_mov_b32 s18, s14
	v_mul_f64 v[90:91], v[64:65], s[2:3]
	v_mul_f64 v[96:97], v[82:83], s[8:9]
	s_mov_b32 s11, 0x3fed1bb4
	s_mov_b32 s10, s2
	;; [unrolled: 4-line block ×4, first 2 shown]
	v_mul_f64 v[64:65], v[64:65], s[28:29]
	v_mul_f64 v[82:83], v[82:83], s[30:31]
	s_mov_b32 s34, s28
	v_fma_f64 v[84:85], s[16:17], v[80:81], v[78:79]
	v_fma_f64 v[88:89], s[18:19], v[76:77], v[86:87]
	v_fma_f64 v[78:79], v[80:81], s[16:17], -v[78:79]
	v_fmac_f64_e32 v[86:87], s[14:15], v[76:77]
	v_fma_f64 v[94:95], s[8:9], v[80:81], v[90:91]
	v_fma_f64 v[98:99], s[10:11], v[76:77], v[96:97]
	v_fma_f64 v[90:91], v[80:81], s[8:9], -v[90:91]
	v_fmac_f64_e32 v[96:97], s[2:3], v[76:77]
	;; [unrolled: 4-line block ×5, first 2 shown]
	v_add_f64 v[76:77], v[62:63], v[74:75]
	v_add_f64 v[62:63], v[62:63], -v[74:75]
	v_add_f64 v[84:85], v[36:37], v[84:85]
	v_add_f64 v[78:79], v[36:37], v[78:79]
	;; [unrolled: 1-line block ×11, first 2 shown]
	v_add_f64 v[66:67], v[66:67], -v[70:71]
	v_mul_f64 v[70:71], v[62:63], s[2:3]
	v_mul_f64 v[80:81], v[76:77], s[8:9]
	v_add_f64 v[88:89], v[38:39], v[88:89]
	v_add_f64 v[86:87], v[38:39], v[86:87]
	;; [unrolled: 1-line block ×10, first 2 shown]
	v_fma_f64 v[74:75], s[8:9], v[64:65], v[70:71]
	v_fma_f64 v[82:83], s[10:11], v[66:67], v[80:81]
	v_fma_f64 v[70:71], v[64:65], s[8:9], -v[70:71]
	v_fmac_f64_e32 v[80:81], s[2:3], v[66:67]
	v_add_f64 v[70:71], v[70:71], v[78:79]
	v_add_f64 v[78:79], v[80:81], v[86:87]
	v_mul_f64 v[80:81], v[62:63], s[22:23]
	v_add_f64 v[74:75], v[74:75], v[84:85]
	v_fma_f64 v[84:85], s[24:25], v[64:65], v[80:81]
	v_fma_f64 v[80:81], v[64:65], s[24:25], -v[80:81]
	v_mul_f64 v[86:87], v[76:77], s[24:25]
	v_add_f64 v[80:81], v[80:81], v[90:91]
	v_mul_f64 v[90:91], v[62:63], s[34:35]
	v_add_f64 v[82:83], v[82:83], v[88:89]
	v_add_f64 v[84:85], v[84:85], v[94:95]
	v_fma_f64 v[88:89], s[26:27], v[66:67], v[86:87]
	v_fmac_f64_e32 v[86:87], s[22:23], v[66:67]
	v_fma_f64 v[94:95], s[30:31], v[64:65], v[90:91]
	v_fma_f64 v[90:91], v[64:65], s[30:31], -v[90:91]
	v_add_f64 v[86:87], v[86:87], v[96:97]
	v_mul_f64 v[96:97], v[76:77], s[30:31]
	v_add_f64 v[90:91], v[90:91], v[100:101]
	v_mul_f64 v[100:101], v[62:63], s[20:21]
	v_add_f64 v[88:89], v[88:89], v[98:99]
	v_add_f64 v[94:95], v[94:95], v[102:103]
	v_fma_f64 v[98:99], s[28:29], v[66:67], v[96:97]
	v_fmac_f64_e32 v[96:97], s[34:35], v[66:67]
	v_fma_f64 v[102:103], s[12:13], v[64:65], v[100:101]
	v_fma_f64 v[100:101], v[64:65], s[12:13], -v[100:101]
	v_mul_f64 v[62:63], v[62:63], s[18:19]
	v_add_f64 v[96:97], v[96:97], v[104:105]
	v_mul_f64 v[104:105], v[76:77], s[12:13]
	v_add_f64 v[100:101], v[100:101], v[108:109]
	v_fma_f64 v[108:109], s[16:17], v[64:65], v[62:63]
	v_mul_f64 v[76:77], v[76:77], s[16:17]
	v_fma_f64 v[62:63], v[64:65], s[16:17], -v[62:63]
	v_add_f64 v[64:65], v[92:93], v[68:69]
	v_add_f64 v[68:69], v[92:93], -v[68:69]
	v_add_f64 v[98:99], v[98:99], v[106:107]
	v_add_f64 v[102:103], v[102:103], v[110:111]
	v_fma_f64 v[106:107], s[0:1], v[66:67], v[104:105]
	v_fmac_f64_e32 v[104:105], s[20:21], v[66:67]
	v_fma_f64 v[110:111], s[14:15], v[66:67], v[76:77]
	v_add_f64 v[36:37], v[62:63], v[36:37]
	v_fmac_f64_e32 v[76:77], s[18:19], v[66:67]
	v_add_f64 v[62:63], v[126:127], v[72:73]
	v_add_f64 v[66:67], v[126:127], -v[72:73]
	v_mul_f64 v[72:73], v[68:69], s[0:1]
	v_add_f64 v[38:39], v[76:77], v[38:39]
	v_fma_f64 v[76:77], s[12:13], v[62:63], v[72:73]
	v_add_f64 v[74:75], v[76:77], v[74:75]
	v_mul_f64 v[76:77], v[64:65], s[12:13]
	v_fma_f64 v[92:93], s[20:21], v[66:67], v[76:77]
	v_fma_f64 v[72:73], v[62:63], s[12:13], -v[72:73]
	v_fmac_f64_e32 v[76:77], s[0:1], v[66:67]
	v_add_f64 v[70:71], v[72:73], v[70:71]
	v_add_f64 v[72:73], v[76:77], v[78:79]
	v_mul_f64 v[76:77], v[68:69], s[34:35]
	v_fma_f64 v[78:79], s[30:31], v[62:63], v[76:77]
	v_add_f64 v[78:79], v[78:79], v[84:85]
	v_mul_f64 v[84:85], v[64:65], s[30:31]
	v_add_f64 v[82:83], v[92:93], v[82:83]
	v_fma_f64 v[92:93], s[28:29], v[66:67], v[84:85]
	v_fma_f64 v[76:77], v[62:63], s[30:31], -v[76:77]
	v_fmac_f64_e32 v[84:85], s[34:35], v[66:67]
	v_add_f64 v[76:77], v[76:77], v[80:81]
	v_add_f64 v[80:81], v[84:85], v[86:87]
	v_mul_f64 v[84:85], v[68:69], s[10:11]
	v_add_f64 v[88:89], v[92:93], v[88:89]
	v_fma_f64 v[86:87], s[8:9], v[62:63], v[84:85]
	v_mul_f64 v[92:93], v[64:65], s[8:9]
	v_add_f64 v[86:87], v[86:87], v[94:95]
	v_fma_f64 v[94:95], s[2:3], v[66:67], v[92:93]
	v_fma_f64 v[84:85], v[62:63], s[8:9], -v[84:85]
	v_fmac_f64_e32 v[92:93], s[10:11], v[66:67]
	v_add_f64 v[84:85], v[84:85], v[90:91]
	v_add_f64 v[90:91], v[92:93], v[96:97]
	v_mul_f64 v[92:93], v[68:69], s[14:15]
	v_add_f64 v[94:95], v[94:95], v[98:99]
	v_fma_f64 v[96:97], s[16:17], v[62:63], v[92:93]
	v_mul_f64 v[98:99], v[64:65], s[16:17]
	v_add_f64 v[104:105], v[104:105], v[112:113]
	v_add_f64 v[96:97], v[96:97], v[102:103]
	v_fma_f64 v[102:103], s[18:19], v[66:67], v[98:99]
	v_fmac_f64_e32 v[98:99], s[14:15], v[66:67]
	v_mul_f64 v[64:65], v[64:65], s[24:25]
	v_fma_f64 v[92:93], v[62:63], s[16:17], -v[92:93]
	v_add_f64 v[98:99], v[98:99], v[104:105]
	v_mul_f64 v[68:69], v[68:69], s[22:23]
	v_fma_f64 v[104:105], s[26:27], v[66:67], v[64:65]
	v_fmac_f64_e32 v[64:65], s[22:23], v[66:67]
	v_add_f64 v[92:93], v[92:93], v[100:101]
	v_fma_f64 v[100:101], s[24:25], v[62:63], v[68:69]
	v_fma_f64 v[62:63], v[62:63], s[24:25], -v[68:69]
	v_add_f64 v[38:39], v[64:65], v[38:39]
	v_add_f64 v[64:65], v[54:55], v[60:61]
	v_add_f64 v[54:55], v[54:55], -v[60:61]
	v_add_f64 v[36:37], v[62:63], v[36:37]
	v_add_f64 v[62:63], v[56:57], v[58:59]
	v_add_f64 v[56:57], v[56:57], -v[58:59]
	v_mul_f64 v[58:59], v[54:55], s[22:23]
	v_fma_f64 v[60:61], s[24:25], v[62:63], v[58:59]
	v_mul_f64 v[66:67], v[64:65], s[24:25]
	v_fma_f64 v[58:59], v[62:63], s[24:25], -v[58:59]
	v_fma_f64 v[68:69], s[26:27], v[56:57], v[66:67]
	v_add_f64 v[58:59], v[58:59], v[70:71]
	v_fmac_f64_e32 v[66:67], s[22:23], v[56:57]
	v_mul_f64 v[70:71], v[54:55], s[20:21]
	v_add_f64 v[60:61], v[60:61], v[74:75]
	v_add_f64 v[66:67], v[66:67], v[72:73]
	v_fma_f64 v[72:73], s[12:13], v[62:63], v[70:71]
	v_mul_f64 v[74:75], v[64:65], s[12:13]
	v_fma_f64 v[70:71], v[62:63], s[12:13], -v[70:71]
	v_add_f64 v[72:73], v[72:73], v[78:79]
	v_fma_f64 v[78:79], s[0:1], v[56:57], v[74:75]
	v_add_f64 v[70:71], v[70:71], v[76:77]
	v_fmac_f64_e32 v[74:75], s[20:21], v[56:57]
	v_mul_f64 v[76:77], v[54:55], s[14:15]
	v_add_f64 v[68:69], v[68:69], v[82:83]
	v_add_f64 v[74:75], v[74:75], v[80:81]
	v_fma_f64 v[80:81], s[16:17], v[62:63], v[76:77]
	v_mul_f64 v[82:83], v[64:65], s[16:17]
	v_fma_f64 v[76:77], v[62:63], s[16:17], -v[76:77]
	v_add_f64 v[80:81], v[80:81], v[86:87]
	v_fma_f64 v[86:87], s[18:19], v[56:57], v[82:83]
	v_add_f64 v[76:77], v[76:77], v[84:85]
	v_fmac_f64_e32 v[82:83], s[14:15], v[56:57]
	v_mul_f64 v[84:85], v[54:55], s[28:29]
	v_add_f64 v[106:107], v[106:107], v[114:115]
	v_add_f64 v[108:109], v[108:109], v[116:117]
	;; [unrolled: 1-line block ×5, first 2 shown]
	v_fma_f64 v[88:89], s[30:31], v[62:63], v[84:85]
	v_mul_f64 v[90:91], v[64:65], s[30:31]
	v_mul_f64 v[64:65], v[64:65], s[8:9]
	v_add_f64 v[102:103], v[102:103], v[106:107]
	v_add_f64 v[100:101], v[100:101], v[108:109]
	;; [unrolled: 1-line block ×5, first 2 shown]
	v_fma_f64 v[94:95], s[34:35], v[56:57], v[90:91]
	v_fma_f64 v[84:85], v[62:63], s[30:31], -v[84:85]
	v_mul_f64 v[54:55], v[54:55], s[10:11]
	v_fma_f64 v[96:97], s[2:3], v[56:57], v[64:65]
	v_add_f64 v[108:109], v[48:49], -v[52:53]
	v_add_f64 v[94:95], v[94:95], v[102:103]
	v_add_f64 v[84:85], v[84:85], v[92:93]
	v_fmac_f64_e32 v[90:91], s[28:29], v[56:57]
	v_fma_f64 v[92:93], s[8:9], v[62:63], v[54:55]
	v_add_f64 v[96:97], v[96:97], v[104:105]
	v_fma_f64 v[54:55], v[62:63], s[8:9], -v[54:55]
	v_add_f64 v[102:103], v[46:47], v[50:51]
	v_add_f64 v[104:105], v[48:49], v[52:53]
	v_add_f64 v[106:107], v[46:47], -v[50:51]
	v_mul_f64 v[46:47], v[108:109], s[28:29]
	v_add_f64 v[90:91], v[90:91], v[98:99]
	v_add_f64 v[98:99], v[54:55], v[36:37]
	v_fmac_f64_e32 v[64:65], s[10:11], v[56:57]
	v_fma_f64 v[36:37], s[30:31], v[102:103], v[46:47]
	v_fma_f64 v[46:47], v[102:103], s[30:31], -v[46:47]
	v_mul_f64 v[54:55], v[108:109], s[18:19]
	v_mul_f64 v[56:57], v[104:105], s[16:17]
	v_mul_f64 v[62:63], v[108:109], s[22:23]
	v_mul_f64 v[48:49], v[104:105], s[30:31]
	v_add_f64 v[46:47], v[46:47], v[58:59]
	v_fma_f64 v[50:51], s[16:17], v[102:103], v[54:55]
	v_fma_f64 v[52:53], s[14:15], v[106:107], v[56:57]
	v_fma_f64 v[54:55], v[102:103], s[16:17], -v[54:55]
	v_fma_f64 v[58:59], s[24:25], v[102:103], v[62:63]
	v_add_f64 v[92:93], v[92:93], v[100:101]
	v_add_f64 v[100:101], v[64:65], v[38:39]
	v_fma_f64 v[38:39], s[34:35], v[106:107], v[48:49]
	v_fmac_f64_e32 v[48:49], s[28:29], v[106:107]
	v_add_f64 v[50:51], v[50:51], v[72:73]
	v_add_f64 v[52:53], v[52:53], v[78:79]
	;; [unrolled: 1-line block ×3, first 2 shown]
	v_fmac_f64_e32 v[56:57], s[18:19], v[106:107]
	v_add_f64 v[58:59], v[58:59], v[80:81]
	v_mul_f64 v[64:65], v[104:105], s[24:25]
	v_fma_f64 v[62:63], v[102:103], s[24:25], -v[62:63]
	v_mul_f64 v[70:71], v[108:109], s[10:11]
	v_mul_f64 v[72:73], v[104:105], s[8:9]
	;; [unrolled: 1-line block ×4, first 2 shown]
	v_add_f64 v[36:37], v[36:37], v[60:61]
	v_add_f64 v[38:39], v[38:39], v[68:69]
	;; [unrolled: 1-line block ×4, first 2 shown]
	v_fma_f64 v[60:61], s[26:27], v[106:107], v[64:65]
	v_add_f64 v[62:63], v[62:63], v[76:77]
	v_fmac_f64_e32 v[64:65], s[22:23], v[106:107]
	v_fma_f64 v[66:67], s[8:9], v[102:103], v[70:71]
	v_fma_f64 v[68:69], s[2:3], v[106:107], v[72:73]
	v_fma_f64 v[70:71], v[102:103], s[8:9], -v[70:71]
	v_fmac_f64_e32 v[72:73], s[10:11], v[106:107]
	v_fma_f64 v[74:75], s[12:13], v[102:103], v[78:79]
	v_fma_f64 v[76:77], s[20:21], v[106:107], v[80:81]
	v_fma_f64 v[78:79], v[102:103], s[12:13], -v[78:79]
	v_fmac_f64_e32 v[80:81], s[0:1], v[106:107]
	v_add_f64 v[60:61], v[60:61], v[86:87]
	v_add_f64 v[64:65], v[64:65], v[82:83]
	v_add_f64 v[66:67], v[66:67], v[88:89]
	v_add_f64 v[68:69], v[68:69], v[94:95]
	v_add_f64 v[70:71], v[70:71], v[84:85]
	v_add_f64 v[72:73], v[72:73], v[90:91]
	v_add_f64 v[74:75], v[74:75], v[92:93]
	v_add_f64 v[76:77], v[76:77], v[96:97]
	v_add_f64 v[78:79], v[78:79], v[98:99]
	v_add_f64 v[80:81], v[80:81], v[100:101]
	ds_write_b128 v140, v[32:35]
	ds_write_b128 v140, v[36:39] offset:768
	ds_write_b128 v140, v[50:53] offset:1536
	;; [unrolled: 1-line block ×10, first 2 shown]
	s_waitcnt lgkmcnt(0)
	; wave barrier
	s_waitcnt lgkmcnt(0)
	ds_read_b128 v[32:35], v140
	v_mov_b32_e32 v44, v43
	v_mad_u64_u32 v[36:37], s[0:1], s7, v146, v[44:45]
	v_mov_b32_e32 v43, v36
	ds_read_b128 v[36:39], v140 offset:768
	s_waitcnt lgkmcnt(1)
	v_mul_f64 v[44:45], v[2:3], v[34:35]
	s_mov_b32 s0, 0xf07c1f08
	v_mul_f64 v[2:3], v[2:3], v[32:33]
	v_fmac_f64_e32 v[44:45], v[0:1], v[32:33]
	s_mov_b32 s1, 0x3f5f07c1
	v_fma_f64 v[0:1], v[0:1], v[34:35], -v[2:3]
	v_mad_u64_u32 v[32:33], s[2:3], s4, v144, 0
	v_mul_f64 v[46:47], v[0:1], s[0:1]
	v_mov_b32_e32 v0, v33
	v_mad_u64_u32 v[0:1], s[2:3], s5, v144, v[0:1]
	v_mov_b32_e32 v33, v0
	ds_read_b128 v[0:3], v140 offset:2112
	v_lshl_add_u64 v[34:35], v[42:43], 4, v[40:41]
	v_lshl_add_u64 v[48:49], v[32:33], 4, v[34:35]
	ds_read_b128 v[32:35], v140 offset:2880
	s_mul_i32 s2, s5, 0x84
	s_waitcnt lgkmcnt(1)
	v_mul_f64 v[40:41], v[6:7], v[2:3]
	v_fmac_f64_e32 v[40:41], v[4:5], v[0:1]
	v_mul_f64 v[0:1], v[6:7], v[0:1]
	v_fma_f64 v[0:1], v[4:5], v[2:3], -v[0:1]
	v_mul_f64 v[42:43], v[0:1], s[0:1]
	ds_read_b128 v[0:3], v140 offset:4224
	ds_read_b128 v[4:7], v140 offset:4992
	s_mul_hi_u32 s3, s4, 0x84
	s_add_i32 s3, s3, s2
	s_mul_i32 s2, s4, 0x84
	v_mul_f64 v[44:45], v[44:45], s[0:1]
	s_lshl_b64 s[2:3], s[2:3], 4
	global_store_dwordx4 v[48:49], v[44:47], off
	v_mul_f64 v[40:41], v[40:41], s[0:1]
	s_mul_hi_u32 s6, s4, 0xfffffea4
	v_lshl_add_u64 v[44:45], v[48:49], 0, s[2:3]
	global_store_dwordx4 v[44:45], v[40:43], off
	v_lshl_add_u64 v[44:45], v[44:45], 0, s[2:3]
	s_mulk_i32 s5, 0xfea4
	s_waitcnt lgkmcnt(1)
	v_mul_f64 v[40:41], v[10:11], v[2:3]
	v_fmac_f64_e32 v[40:41], v[8:9], v[0:1]
	v_mul_f64 v[0:1], v[10:11], v[0:1]
	v_fma_f64 v[8:9], v[8:9], v[2:3], -v[0:1]
	ds_read_b128 v[0:3], v140 offset:6336
	v_mul_f64 v[40:41], v[40:41], s[0:1]
	v_mul_f64 v[42:43], v[8:9], s[0:1]
	ds_read_b128 v[8:11], v140 offset:7104
	global_store_dwordx4 v[44:45], v[40:43], off
	s_sub_i32 s6, s6, s4
	s_add_i32 s5, s6, s5
	s_waitcnt lgkmcnt(1)
	v_mul_f64 v[40:41], v[14:15], v[2:3]
	v_fmac_f64_e32 v[40:41], v[12:13], v[0:1]
	v_mul_f64 v[0:1], v[14:15], v[0:1]
	v_fma_f64 v[0:1], v[12:13], v[2:3], -v[0:1]
	v_mul_f64 v[42:43], v[0:1], s[0:1]
	v_mul_f64 v[0:1], v[18:19], v[38:39]
	;; [unrolled: 1-line block ×4, first 2 shown]
	v_lshl_add_u64 v[12:13], v[44:45], 0, s[2:3]
	v_fmac_f64_e32 v[0:1], v[16:17], v[36:37]
	v_fma_f64 v[2:3], v[16:17], v[38:39], -v[2:3]
	s_mulk_i32 s4, 0xfea4
	global_store_dwordx4 v[12:13], v[40:43], off
	v_mul_f64 v[0:1], v[0:1], s[0:1]
	v_mul_f64 v[2:3], v[2:3], s[0:1]
	v_lshl_add_u64 v[12:13], s[4:5], 4, v[12:13]
	global_store_dwordx4 v[12:13], v[0:3], off
	v_lshl_add_u64 v[12:13], v[12:13], 0, s[2:3]
	s_nop 0
	v_mul_f64 v[0:1], v[22:23], v[34:35]
	v_mul_f64 v[2:3], v[22:23], v[32:33]
	v_fmac_f64_e32 v[0:1], v[20:21], v[32:33]
	v_fma_f64 v[2:3], v[20:21], v[34:35], -v[2:3]
	v_mul_f64 v[0:1], v[0:1], s[0:1]
	v_mul_f64 v[2:3], v[2:3], s[0:1]
	global_store_dwordx4 v[12:13], v[0:3], off
	s_nop 1
	v_mul_f64 v[0:1], v[26:27], v[6:7]
	v_mul_f64 v[2:3], v[26:27], v[4:5]
	v_fmac_f64_e32 v[0:1], v[24:25], v[4:5]
	v_fma_f64 v[2:3], v[24:25], v[6:7], -v[2:3]
	v_mul_f64 v[0:1], v[0:1], s[0:1]
	v_mul_f64 v[2:3], v[2:3], s[0:1]
	v_lshl_add_u64 v[6:7], v[12:13], 0, s[2:3]
	global_store_dwordx4 v[6:7], v[0:3], off
	s_waitcnt lgkmcnt(0)
	s_nop 0
	v_mul_f64 v[0:1], v[30:31], v[10:11]
	v_fmac_f64_e32 v[0:1], v[28:29], v[8:9]
	v_mul_f64 v[2:3], v[0:1], s[0:1]
	v_mul_f64 v[0:1], v[30:31], v[8:9]
	v_fma_f64 v[0:1], v[28:29], v[10:11], -v[0:1]
	v_mul_f64 v[4:5], v[0:1], s[0:1]
	v_lshl_add_u64 v[0:1], v[6:7], 0, s[2:3]
	global_store_dwordx4 v[0:1], v[2:5], off
	s_and_b64 exec, exec, vcc
	s_cbranch_execz .LBB0_31
; %bb.30:
	s_movk_i32 s6, 0x1000
	global_load_dwordx4 v[2:5], v[142:143], off offset:1536
	global_load_dwordx4 v[6:9], v[142:143], off offset:3648
	v_add_co_u32_e32 v18, vcc, s6, v142
	v_lshl_add_u64 v[34:35], s[4:5], 4, v[0:1]
	s_nop 0
	v_addc_co_u32_e32 v19, vcc, 0, v143, vcc
	global_load_dwordx4 v[10:13], v[18:19], off offset:1664
	global_load_dwordx4 v[14:17], v[18:19], off offset:3776
	ds_read_b128 v[18:21], v140 offset:1536
	ds_read_b128 v[22:25], v140 offset:3648
	;; [unrolled: 1-line block ×4, first 2 shown]
	v_lshl_add_u64 v[36:37], v[34:35], 0, s[2:3]
	v_lshl_add_u64 v[38:39], v[36:37], 0, s[2:3]
	;; [unrolled: 1-line block ×3, first 2 shown]
	s_waitcnt vmcnt(3) lgkmcnt(3)
	v_mul_f64 v[0:1], v[20:21], v[4:5]
	v_mul_f64 v[4:5], v[18:19], v[4:5]
	s_waitcnt vmcnt(2) lgkmcnt(2)
	v_mul_f64 v[42:43], v[24:25], v[8:9]
	v_mul_f64 v[8:9], v[22:23], v[8:9]
	v_fmac_f64_e32 v[0:1], v[18:19], v[2:3]
	v_fma_f64 v[2:3], v[2:3], v[20:21], -v[4:5]
	v_fmac_f64_e32 v[42:43], v[22:23], v[6:7]
	v_fma_f64 v[6:7], v[6:7], v[24:25], -v[8:9]
	v_mul_f64 v[0:1], v[0:1], s[0:1]
	v_mul_f64 v[2:3], v[2:3], s[0:1]
	s_waitcnt vmcnt(1) lgkmcnt(1)
	v_mul_f64 v[8:9], v[28:29], v[12:13]
	v_mul_f64 v[12:13], v[26:27], v[12:13]
	;; [unrolled: 1-line block ×4, first 2 shown]
	s_waitcnt vmcnt(0) lgkmcnt(0)
	v_mul_f64 v[18:19], v[32:33], v[16:17]
	v_mul_f64 v[16:17], v[30:31], v[16:17]
	global_store_dwordx4 v[34:35], v[0:3], off
	global_store_dwordx4 v[36:37], v[4:7], off
	v_fmac_f64_e32 v[8:9], v[26:27], v[10:11]
	v_fma_f64 v[2:3], v[10:11], v[28:29], -v[12:13]
	v_fmac_f64_e32 v[18:19], v[30:31], v[14:15]
	v_fma_f64 v[6:7], v[14:15], v[32:33], -v[16:17]
	v_mul_f64 v[0:1], v[8:9], s[0:1]
	v_mul_f64 v[2:3], v[2:3], s[0:1]
	;; [unrolled: 1-line block ×4, first 2 shown]
	global_store_dwordx4 v[38:39], v[0:3], off
	global_store_dwordx4 v[40:41], v[4:7], off
.LBB0_31:
	s_endpgm
	.section	.rodata,"a",@progbits
	.p2align	6, 0x0
	.amdhsa_kernel bluestein_single_back_len528_dim1_dp_op_CI_CI
		.amdhsa_group_segment_fixed_size 8448
		.amdhsa_private_segment_fixed_size 0
		.amdhsa_kernarg_size 104
		.amdhsa_user_sgpr_count 2
		.amdhsa_user_sgpr_dispatch_ptr 0
		.amdhsa_user_sgpr_queue_ptr 0
		.amdhsa_user_sgpr_kernarg_segment_ptr 1
		.amdhsa_user_sgpr_dispatch_id 0
		.amdhsa_user_sgpr_kernarg_preload_length 0
		.amdhsa_user_sgpr_kernarg_preload_offset 0
		.amdhsa_user_sgpr_private_segment_size 0
		.amdhsa_uses_dynamic_stack 0
		.amdhsa_enable_private_segment 0
		.amdhsa_system_sgpr_workgroup_id_x 1
		.amdhsa_system_sgpr_workgroup_id_y 0
		.amdhsa_system_sgpr_workgroup_id_z 0
		.amdhsa_system_sgpr_workgroup_info 0
		.amdhsa_system_vgpr_workitem_id 0
		.amdhsa_next_free_vgpr 202
		.amdhsa_next_free_sgpr 36
		.amdhsa_accum_offset 204
		.amdhsa_reserve_vcc 1
		.amdhsa_float_round_mode_32 0
		.amdhsa_float_round_mode_16_64 0
		.amdhsa_float_denorm_mode_32 3
		.amdhsa_float_denorm_mode_16_64 3
		.amdhsa_dx10_clamp 1
		.amdhsa_ieee_mode 1
		.amdhsa_fp16_overflow 0
		.amdhsa_tg_split 0
		.amdhsa_exception_fp_ieee_invalid_op 0
		.amdhsa_exception_fp_denorm_src 0
		.amdhsa_exception_fp_ieee_div_zero 0
		.amdhsa_exception_fp_ieee_overflow 0
		.amdhsa_exception_fp_ieee_underflow 0
		.amdhsa_exception_fp_ieee_inexact 0
		.amdhsa_exception_int_div_zero 0
	.end_amdhsa_kernel
	.text
.Lfunc_end0:
	.size	bluestein_single_back_len528_dim1_dp_op_CI_CI, .Lfunc_end0-bluestein_single_back_len528_dim1_dp_op_CI_CI
                                        ; -- End function
	.section	.AMDGPU.csdata,"",@progbits
; Kernel info:
; codeLenInByte = 13924
; NumSgprs: 42
; NumVgprs: 202
; NumAgprs: 0
; TotalNumVgprs: 202
; ScratchSize: 0
; MemoryBound: 0
; FloatMode: 240
; IeeeMode: 1
; LDSByteSize: 8448 bytes/workgroup (compile time only)
; SGPRBlocks: 5
; VGPRBlocks: 25
; NumSGPRsForWavesPerEU: 42
; NumVGPRsForWavesPerEU: 202
; AccumOffset: 204
; Occupancy: 2
; WaveLimiterHint : 1
; COMPUTE_PGM_RSRC2:SCRATCH_EN: 0
; COMPUTE_PGM_RSRC2:USER_SGPR: 2
; COMPUTE_PGM_RSRC2:TRAP_HANDLER: 0
; COMPUTE_PGM_RSRC2:TGID_X_EN: 1
; COMPUTE_PGM_RSRC2:TGID_Y_EN: 0
; COMPUTE_PGM_RSRC2:TGID_Z_EN: 0
; COMPUTE_PGM_RSRC2:TIDIG_COMP_CNT: 0
; COMPUTE_PGM_RSRC3_GFX90A:ACCUM_OFFSET: 50
; COMPUTE_PGM_RSRC3_GFX90A:TG_SPLIT: 0
	.text
	.p2alignl 6, 3212836864
	.fill 256, 4, 3212836864
	.type	__hip_cuid_496655414c919ffe,@object ; @__hip_cuid_496655414c919ffe
	.section	.bss,"aw",@nobits
	.globl	__hip_cuid_496655414c919ffe
__hip_cuid_496655414c919ffe:
	.byte	0                               ; 0x0
	.size	__hip_cuid_496655414c919ffe, 1

	.ident	"AMD clang version 19.0.0git (https://github.com/RadeonOpenCompute/llvm-project roc-6.4.0 25133 c7fe45cf4b819c5991fe208aaa96edf142730f1d)"
	.section	".note.GNU-stack","",@progbits
	.addrsig
	.addrsig_sym __hip_cuid_496655414c919ffe
	.amdgpu_metadata
---
amdhsa.kernels:
  - .agpr_count:     0
    .args:
      - .actual_access:  read_only
        .address_space:  global
        .offset:         0
        .size:           8
        .value_kind:     global_buffer
      - .actual_access:  read_only
        .address_space:  global
        .offset:         8
        .size:           8
        .value_kind:     global_buffer
      - .actual_access:  read_only
        .address_space:  global
        .offset:         16
        .size:           8
        .value_kind:     global_buffer
      - .actual_access:  read_only
        .address_space:  global
        .offset:         24
        .size:           8
        .value_kind:     global_buffer
      - .actual_access:  read_only
        .address_space:  global
        .offset:         32
        .size:           8
        .value_kind:     global_buffer
      - .offset:         40
        .size:           8
        .value_kind:     by_value
      - .address_space:  global
        .offset:         48
        .size:           8
        .value_kind:     global_buffer
      - .address_space:  global
        .offset:         56
        .size:           8
        .value_kind:     global_buffer
      - .address_space:  global
        .offset:         64
        .size:           8
        .value_kind:     global_buffer
      - .address_space:  global
        .offset:         72
        .size:           8
        .value_kind:     global_buffer
      - .offset:         80
        .size:           4
        .value_kind:     by_value
      - .address_space:  global
        .offset:         88
        .size:           8
        .value_kind:     global_buffer
      - .address_space:  global
        .offset:         96
        .size:           8
        .value_kind:     global_buffer
    .group_segment_fixed_size: 8448
    .kernarg_segment_align: 8
    .kernarg_segment_size: 104
    .language:       OpenCL C
    .language_version:
      - 2
      - 0
    .max_flat_workgroup_size: 48
    .name:           bluestein_single_back_len528_dim1_dp_op_CI_CI
    .private_segment_fixed_size: 0
    .sgpr_count:     42
    .sgpr_spill_count: 0
    .symbol:         bluestein_single_back_len528_dim1_dp_op_CI_CI.kd
    .uniform_work_group_size: 1
    .uses_dynamic_stack: false
    .vgpr_count:     202
    .vgpr_spill_count: 0
    .wavefront_size: 64
amdhsa.target:   amdgcn-amd-amdhsa--gfx950
amdhsa.version:
  - 1
  - 2
...

	.end_amdgpu_metadata
